;; amdgpu-corpus repo=ROCm/rocFFT kind=compiled arch=gfx906 opt=O3
	.text
	.amdgcn_target "amdgcn-amd-amdhsa--gfx906"
	.amdhsa_code_object_version 6
	.protected	bluestein_single_back_len3750_dim1_dp_op_CI_CI ; -- Begin function bluestein_single_back_len3750_dim1_dp_op_CI_CI
	.globl	bluestein_single_back_len3750_dim1_dp_op_CI_CI
	.p2align	8
	.type	bluestein_single_back_len3750_dim1_dp_op_CI_CI,@function
bluestein_single_back_len3750_dim1_dp_op_CI_CI: ; @bluestein_single_back_len3750_dim1_dp_op_CI_CI
; %bb.0:
	s_load_dwordx4 s[12:15], s[4:5], 0x28
	s_mov_b64 s[30:31], s[2:3]
	v_mul_u32_u24_e32 v3, 0x20d, v0
	s_mov_b64 s[28:29], s[0:1]
	v_add_u32_sdwa v1, s6, v3 dst_sel:DWORD dst_unused:UNUSED_PAD src0_sel:DWORD src1_sel:WORD_1
	v_mov_b32_e32 v2, 0
	s_add_u32 s28, s28, s7
	s_waitcnt lgkmcnt(0)
	v_cmp_gt_u64_e32 vcc, s[12:13], v[1:2]
	s_addc_u32 s29, s29, 0
	s_and_saveexec_b64 s[0:1], vcc
	s_cbranch_execz .LBB0_2
; %bb.1:
	s_load_dwordx4 s[8:11], s[4:5], 0x0
	s_load_dwordx4 s[20:23], s[4:5], 0x18
	s_load_dwordx2 s[12:13], s[4:5], 0x38
	s_movk_i32 s16, 0x7d
	v_mul_lo_u16_sdwa v2, v3, s16 dst_sel:DWORD dst_unused:UNUSED_PAD src0_sel:WORD_1 src1_sel:DWORD
	v_sub_u16_e32 v194, v0, v2
	s_waitcnt lgkmcnt(0)
	s_load_dwordx4 s[0:3], s[22:23], 0x0
	v_lshlrev_b32_e32 v106, 4, v194
	s_movk_i32 s26, 0x2000
	s_mov_b32 s19, 0xbfebb67a
	v_add_u32_e32 v104, 0x2ee, v194
	s_waitcnt lgkmcnt(0)
	v_mad_u64_u32 v[4:5], s[4:5], s2, v1, 0
	v_add_u32_e32 v105, 0x36b, v194
	v_add_u32_e32 v132, 0x3e8, v194
	v_mov_b32_e32 v0, v5
	v_mad_u64_u32 v[2:3], s[2:3], s3, v1, v[0:1]
	v_add_u32_e32 v133, 0x465, v194
                                        ; kill: killed $sgpr8_sgpr9
	v_mov_b32_e32 v216, s11
	v_mov_b32_e32 v5, v2
	buffer_store_dword v4, off, s[28:31], 0 ; 4-byte Folded Spill
	s_nop 0
	buffer_store_dword v5, off, s[28:31], 0 offset:4 ; 4-byte Folded Spill
	global_load_dwordx4 v[10:13], v106, s[8:9]
	s_load_dwordx4 s[4:7], s[20:21], 0x0
	s_movk_i32 s20, 0x89
	v_mov_b32_e32 v228, v194
	s_movk_i32 s21, 0xdb
	s_mov_b32 s23, 0xbfd3c6ef
	s_waitcnt lgkmcnt(0)
	v_mad_u64_u32 v[2:3], s[2:3], s6, v1, 0
	s_movk_i32 s6, 0x4000
	s_mov_b32 s25, 0xbfe9e377
	v_mov_b32_e32 v0, v3
	v_mad_u64_u32 v[0:1], s[2:3], s7, v1, v[0:1]
	s_mov_b32 s7, 0xbfe2cf23
	s_movk_i32 s27, 0x2ee
	v_mov_b32_e32 v3, v0
	v_mad_u64_u32 v[0:1], s[2:3], s4, v194, 0
	v_mad_u64_u32 v[4:5], s[2:3], s5, v194, v[1:2]
	v_lshlrev_b64 v[2:3], 4, v[2:3]
	s_mul_i32 s2, s5, 0x4e20
	v_mov_b32_e32 v1, v4
	v_add_co_u32_e32 v2, vcc, s14, v2
	v_mov_b32_e32 v4, s15
	v_lshlrev_b64 v[0:1], 4, v[0:1]
	v_addc_co_u32_e32 v3, vcc, v4, v3, vcc
	v_add_co_u32_e32 v8, vcc, v2, v0
	v_addc_co_u32_e32 v9, vcc, v3, v1, vcc
	global_load_dwordx4 v[0:3], v[8:9], off
	v_add_co_u32_e32 v170, vcc, s8, v106
	v_mov_b32_e32 v4, s9
	v_addc_co_u32_e32 v171, vcc, 0, v4, vcc
	s_mul_hi_u32 s3, s4, 0x4e20
	s_add_i32 s2, s3, s2
	s_mul_i32 s3, s4, 0x4e20
	s_mul_i32 s5, s5, 0xffff6b90
	s_mov_b32 s15, 0xbfee6f0e
	s_waitcnt vmcnt(1)
	buffer_store_dword v10, off, s[28:31], 0 offset:24 ; 4-byte Folded Spill
	s_nop 0
	buffer_store_dword v11, off, s[28:31], 0 offset:28 ; 4-byte Folded Spill
	buffer_store_dword v12, off, s[28:31], 0 offset:32 ; 4-byte Folded Spill
	;; [unrolled: 1-line block ×3, first 2 shown]
	s_waitcnt vmcnt(4)
	v_mul_f64 v[4:5], v[2:3], v[12:13]
	v_fma_f64 v[4:5], v[0:1], v[10:11], v[4:5]
	v_mul_f64 v[0:1], v[0:1], v[12:13]
	v_fma_f64 v[6:7], v[2:3], v[10:11], -v[0:1]
	v_add_co_u32_e32 v10, vcc, s3, v8
	v_mov_b32_e32 v0, s2
	v_addc_co_u32_e32 v11, vcc, v9, v0, vcc
	v_add_co_u32_e32 v0, vcc, s6, v170
	v_addc_co_u32_e32 v1, vcc, 0, v171, vcc
	global_load_dwordx4 v[12:15], v[0:1], off offset:3616
	ds_write_b128 v106, v[4:7]
	global_load_dwordx4 v[2:5], v[10:11], off
	s_mov_b32 s6, 0x9000
	s_waitcnt vmcnt(1)
	buffer_store_dword v12, off, s[28:31], 0 offset:40 ; 4-byte Folded Spill
	s_nop 0
	buffer_store_dword v13, off, s[28:31], 0 offset:44 ; 4-byte Folded Spill
	buffer_store_dword v14, off, s[28:31], 0 offset:48 ; 4-byte Folded Spill
	;; [unrolled: 1-line block ×3, first 2 shown]
	s_waitcnt vmcnt(4)
	v_mul_f64 v[6:7], v[4:5], v[14:15]
	v_fma_f64 v[6:7], v[2:3], v[12:13], v[6:7]
	v_mul_f64 v[2:3], v[2:3], v[14:15]
	v_fma_f64 v[8:9], v[4:5], v[12:13], -v[2:3]
	v_add_co_u32_e32 v12, vcc, s3, v10
	v_mov_b32_e32 v2, s2
	v_addc_co_u32_e32 v13, vcc, v11, v2, vcc
	v_add_co_u32_e32 v2, vcc, s6, v170
	v_addc_co_u32_e32 v3, vcc, 0, v171, vcc
	global_load_dwordx4 v[14:17], v[2:3], off offset:3136
	ds_write_b128 v106, v[6:9] offset:20000
	global_load_dwordx4 v[4:7], v[12:13], off
	s_mul_hi_u32 s6, s4, 0xffff6b90
	s_sub_i32 s6, s6, s4
	v_add_co_u32_e32 v107, vcc, s16, v194
	s_add_i32 s5, s6, s5
	s_mul_i32 s4, s4, 0xffff6b90
	v_add_co_u32_e32 v12, vcc, s4, v12
	s_movk_i32 s6, 0x5000
	s_mov_b32 s16, 0xe8584caa
	s_mov_b32 s17, 0x3febb67a
	;; [unrolled: 1-line block ×3, first 2 shown]
	s_waitcnt vmcnt(1)
	buffer_store_dword v14, off, s[28:31], 0 offset:56 ; 4-byte Folded Spill
	s_nop 0
	buffer_store_dword v15, off, s[28:31], 0 offset:60 ; 4-byte Folded Spill
	buffer_store_dword v16, off, s[28:31], 0 offset:64 ; 4-byte Folded Spill
	;; [unrolled: 1-line block ×3, first 2 shown]
	s_waitcnt vmcnt(4)
	v_mul_f64 v[8:9], v[6:7], v[16:17]
	v_fma_f64 v[8:9], v[4:5], v[14:15], v[8:9]
	v_mul_f64 v[4:5], v[4:5], v[16:17]
	v_fma_f64 v[10:11], v[6:7], v[14:15], -v[4:5]
	v_mov_b32_e32 v4, s5
	v_addc_co_u32_e32 v13, vcc, v13, v4, vcc
	ds_write_b128 v106, v[8:11] offset:40000
	global_load_dwordx4 v[4:7], v[12:13], off
	global_load_dwordx4 v[14:17], v106, s[8:9] offset:2000
	v_add_co_u32_e32 v12, vcc, s3, v12
	s_waitcnt vmcnt(0)
	buffer_store_dword v14, off, s[28:31], 0 offset:72 ; 4-byte Folded Spill
	s_nop 0
	buffer_store_dword v15, off, s[28:31], 0 offset:76 ; 4-byte Folded Spill
	buffer_store_dword v16, off, s[28:31], 0 offset:80 ; 4-byte Folded Spill
	;; [unrolled: 1-line block ×3, first 2 shown]
	v_mul_f64 v[8:9], v[6:7], v[16:17]
	v_fma_f64 v[8:9], v[4:5], v[14:15], v[8:9]
	v_mul_f64 v[4:5], v[4:5], v[16:17]
	v_fma_f64 v[10:11], v[6:7], v[14:15], -v[4:5]
	v_mov_b32_e32 v4, s2
	v_addc_co_u32_e32 v13, vcc, v13, v4, vcc
	v_add_co_u32_e32 v14, vcc, s6, v170
	v_addc_co_u32_e32 v15, vcc, 0, v171, vcc
	global_load_dwordx4 v[16:19], v[14:15], off offset:1520
	global_load_dwordx4 v[4:7], v[12:13], off
	ds_write_b128 v106, v[8:11] offset:2000
	v_add_co_u32_e32 v12, vcc, s3, v12
	s_mov_b32 s6, 0xa000
                                        ; kill: killed $vgpr14 killed $vgpr15
	s_waitcnt vmcnt(1)
	buffer_store_dword v16, off, s[28:31], 0 offset:88 ; 4-byte Folded Spill
	s_nop 0
	buffer_store_dword v17, off, s[28:31], 0 offset:92 ; 4-byte Folded Spill
	buffer_store_dword v18, off, s[28:31], 0 offset:96 ; 4-byte Folded Spill
	;; [unrolled: 1-line block ×3, first 2 shown]
	s_waitcnt vmcnt(4)
	v_mul_f64 v[8:9], v[6:7], v[18:19]
	v_fma_f64 v[8:9], v[4:5], v[16:17], v[8:9]
	v_mul_f64 v[4:5], v[4:5], v[18:19]
	v_fma_f64 v[10:11], v[6:7], v[16:17], -v[4:5]
	v_mov_b32_e32 v4, s2
	v_addc_co_u32_e32 v13, vcc, v13, v4, vcc
	v_add_co_u32_e32 v16, vcc, s6, v170
	v_addc_co_u32_e32 v17, vcc, 0, v171, vcc
	global_load_dwordx4 v[18:21], v[16:17], off offset:1040
	global_load_dwordx4 v[4:7], v[12:13], off
	ds_write_b128 v106, v[8:11] offset:22000
	s_movk_i32 s6, 0xfa
	v_add_co_u32_e32 v180, vcc, s6, v194
	v_add_co_u32_e32 v12, vcc, s4, v12
	s_movk_i32 s6, 0x177
                                        ; kill: killed $vgpr16 killed $vgpr17
	s_waitcnt vmcnt(1)
	buffer_store_dword v18, off, s[28:31], 0 offset:104 ; 4-byte Folded Spill
	s_nop 0
	buffer_store_dword v19, off, s[28:31], 0 offset:108 ; 4-byte Folded Spill
	buffer_store_dword v20, off, s[28:31], 0 offset:112 ; 4-byte Folded Spill
	;; [unrolled: 1-line block ×3, first 2 shown]
	s_waitcnt vmcnt(4)
	v_mul_f64 v[8:9], v[6:7], v[20:21]
	v_fma_f64 v[8:9], v[4:5], v[18:19], v[8:9]
	v_mul_f64 v[4:5], v[4:5], v[20:21]
	v_fma_f64 v[10:11], v[6:7], v[18:19], -v[4:5]
	v_mov_b32_e32 v4, s5
	v_addc_co_u32_e32 v13, vcc, v13, v4, vcc
	ds_write_b128 v106, v[8:11] offset:42000
	global_load_dwordx4 v[4:7], v[12:13], off
	global_load_dwordx4 v[18:21], v106, s[8:9] offset:4000
	v_add_co_u32_e32 v12, vcc, s3, v12
	s_mov_b32 s8, 0x4755a5e
	s_mov_b32 s9, 0x3fe2cf23
	s_waitcnt vmcnt(0)
	buffer_store_dword v18, off, s[28:31], 0 offset:120 ; 4-byte Folded Spill
	s_nop 0
	buffer_store_dword v19, off, s[28:31], 0 offset:124 ; 4-byte Folded Spill
	buffer_store_dword v20, off, s[28:31], 0 offset:128 ; 4-byte Folded Spill
	buffer_store_dword v21, off, s[28:31], 0 offset:132 ; 4-byte Folded Spill
	v_mul_f64 v[8:9], v[6:7], v[20:21]
	v_fma_f64 v[8:9], v[4:5], v[18:19], v[8:9]
	v_mul_f64 v[4:5], v[4:5], v[20:21]
	v_fma_f64 v[10:11], v[6:7], v[18:19], -v[4:5]
	v_mov_b32_e32 v4, s2
	v_addc_co_u32_e32 v13, vcc, v13, v4, vcc
	ds_write_b128 v106, v[8:11] offset:4000
	global_load_dwordx4 v[4:7], v[12:13], off
	global_load_dwordx4 v[18:21], v[14:15], off offset:3520
	v_add_co_u32_e32 v12, vcc, s3, v12
	s_waitcnt vmcnt(0)
	buffer_store_dword v18, off, s[28:31], 0 offset:136 ; 4-byte Folded Spill
	s_nop 0
	buffer_store_dword v19, off, s[28:31], 0 offset:140 ; 4-byte Folded Spill
	buffer_store_dword v20, off, s[28:31], 0 offset:144 ; 4-byte Folded Spill
	;; [unrolled: 1-line block ×3, first 2 shown]
	v_mul_f64 v[8:9], v[6:7], v[20:21]
	v_fma_f64 v[8:9], v[4:5], v[18:19], v[8:9]
	v_mul_f64 v[4:5], v[4:5], v[20:21]
	v_fma_f64 v[10:11], v[6:7], v[18:19], -v[4:5]
	v_mov_b32_e32 v4, s2
	v_addc_co_u32_e32 v13, vcc, v13, v4, vcc
	v_add_co_u32_e32 v181, vcc, s6, v194
	s_movk_i32 s6, 0x1000
	ds_write_b128 v106, v[8:11] offset:24000
	global_load_dwordx4 v[4:7], v[12:13], off
	global_load_dwordx4 v[18:21], v[16:17], off offset:3040
	v_add_co_u32_e32 v12, vcc, s4, v12
	s_waitcnt vmcnt(0)
	buffer_store_dword v18, off, s[28:31], 0 offset:152 ; 4-byte Folded Spill
	s_nop 0
	buffer_store_dword v19, off, s[28:31], 0 offset:156 ; 4-byte Folded Spill
	buffer_store_dword v20, off, s[28:31], 0 offset:160 ; 4-byte Folded Spill
	;; [unrolled: 1-line block ×3, first 2 shown]
	v_mul_f64 v[8:9], v[6:7], v[20:21]
	v_fma_f64 v[8:9], v[4:5], v[18:19], v[8:9]
	v_mul_f64 v[4:5], v[4:5], v[20:21]
	v_fma_f64 v[10:11], v[6:7], v[18:19], -v[4:5]
	v_mov_b32_e32 v4, s5
	v_addc_co_u32_e32 v13, vcc, v13, v4, vcc
	v_add_co_u32_e32 v14, vcc, s6, v170
	v_addc_co_u32_e32 v15, vcc, 0, v171, vcc
	global_load_dwordx4 v[16:19], v[14:15], off offset:1904
	global_load_dwordx4 v[4:7], v[12:13], off
	ds_write_b128 v106, v[8:11] offset:44000
	v_add_co_u32_e32 v12, vcc, s3, v12
	s_movk_i32 s6, 0x6000
                                        ; kill: killed $vgpr14 killed $vgpr15
	s_waitcnt vmcnt(1)
	buffer_store_dword v16, off, s[28:31], 0 offset:168 ; 4-byte Folded Spill
	s_nop 0
	buffer_store_dword v17, off, s[28:31], 0 offset:172 ; 4-byte Folded Spill
	buffer_store_dword v18, off, s[28:31], 0 offset:176 ; 4-byte Folded Spill
	;; [unrolled: 1-line block ×3, first 2 shown]
	s_waitcnt vmcnt(4)
	v_mul_f64 v[8:9], v[6:7], v[18:19]
	v_fma_f64 v[8:9], v[4:5], v[16:17], v[8:9]
	v_mul_f64 v[4:5], v[4:5], v[18:19]
	v_fma_f64 v[10:11], v[6:7], v[16:17], -v[4:5]
	v_mov_b32_e32 v4, s2
	v_addc_co_u32_e32 v13, vcc, v13, v4, vcc
	v_add_co_u32_e32 v16, vcc, s6, v170
	v_addc_co_u32_e32 v17, vcc, 0, v171, vcc
	global_load_dwordx4 v[18:21], v[16:17], off offset:1424
	global_load_dwordx4 v[4:7], v[12:13], off
	ds_write_b128 v106, v[8:11] offset:6000
	v_add_co_u32_e32 v12, vcc, s3, v12
	s_mov_b32 s6, 0xb000
                                        ; kill: killed $vgpr16 killed $vgpr17
	s_waitcnt vmcnt(1)
	buffer_store_dword v18, off, s[28:31], 0 offset:216 ; 4-byte Folded Spill
	s_nop 0
	buffer_store_dword v19, off, s[28:31], 0 offset:220 ; 4-byte Folded Spill
	buffer_store_dword v20, off, s[28:31], 0 offset:224 ; 4-byte Folded Spill
	;; [unrolled: 1-line block ×3, first 2 shown]
	s_waitcnt vmcnt(4)
	v_mul_f64 v[8:9], v[6:7], v[20:21]
	v_fma_f64 v[8:9], v[4:5], v[18:19], v[8:9]
	v_mul_f64 v[4:5], v[4:5], v[20:21]
	v_fma_f64 v[10:11], v[6:7], v[18:19], -v[4:5]
	v_mov_b32_e32 v4, s2
	v_addc_co_u32_e32 v13, vcc, v13, v4, vcc
	v_add_co_u32_e32 v18, vcc, s6, v170
	v_addc_co_u32_e32 v19, vcc, 0, v171, vcc
	global_load_dwordx4 v[20:23], v[18:19], off offset:944
	global_load_dwordx4 v[4:7], v[12:13], off
	ds_write_b128 v106, v[8:11] offset:26000
	s_movk_i32 s6, 0x1f4
	v_add_co_u32_e32 v182, vcc, s6, v194
	v_add_co_u32_e32 v12, vcc, s4, v12
	s_movk_i32 s6, 0x271
                                        ; kill: killed $vgpr18 killed $vgpr19
	s_waitcnt vmcnt(1)
	buffer_store_dword v20, off, s[28:31], 0 offset:264 ; 4-byte Folded Spill
	s_nop 0
	buffer_store_dword v21, off, s[28:31], 0 offset:268 ; 4-byte Folded Spill
	buffer_store_dword v22, off, s[28:31], 0 offset:272 ; 4-byte Folded Spill
	;; [unrolled: 1-line block ×3, first 2 shown]
	s_waitcnt vmcnt(4)
	v_mul_f64 v[8:9], v[6:7], v[22:23]
	v_fma_f64 v[8:9], v[4:5], v[20:21], v[8:9]
	v_mul_f64 v[4:5], v[4:5], v[22:23]
	v_fma_f64 v[10:11], v[6:7], v[20:21], -v[4:5]
	v_mov_b32_e32 v4, s5
	v_addc_co_u32_e32 v13, vcc, v13, v4, vcc
	ds_write_b128 v106, v[8:11] offset:46000
	global_load_dwordx4 v[4:7], v[12:13], off
	global_load_dwordx4 v[20:23], v[14:15], off offset:3904
	v_add_co_u32_e32 v12, vcc, s3, v12
	s_waitcnt vmcnt(0)
	buffer_store_dword v20, off, s[28:31], 0 offset:312 ; 4-byte Folded Spill
	s_nop 0
	buffer_store_dword v21, off, s[28:31], 0 offset:316 ; 4-byte Folded Spill
	buffer_store_dword v22, off, s[28:31], 0 offset:320 ; 4-byte Folded Spill
	;; [unrolled: 1-line block ×3, first 2 shown]
	v_mul_f64 v[8:9], v[6:7], v[22:23]
	v_fma_f64 v[8:9], v[4:5], v[20:21], v[8:9]
	v_mul_f64 v[4:5], v[4:5], v[22:23]
	v_fma_f64 v[10:11], v[6:7], v[20:21], -v[4:5]
	v_mov_b32_e32 v4, s2
	v_addc_co_u32_e32 v13, vcc, v13, v4, vcc
	ds_write_b128 v106, v[8:11] offset:8000
	global_load_dwordx4 v[4:7], v[12:13], off
	global_load_dwordx4 v[8:11], v[16:17], off offset:3424
	v_add_co_u32_e32 v12, vcc, s3, v12
	s_waitcnt vmcnt(0)
	v_mov_b32_e32 v17, v11
	v_mov_b32_e32 v16, v10
	;; [unrolled: 1-line block ×4, first 2 shown]
	buffer_store_dword v14, off, s[28:31], 0 offset:440 ; 4-byte Folded Spill
	s_nop 0
	buffer_store_dword v15, off, s[28:31], 0 offset:444 ; 4-byte Folded Spill
	buffer_store_dword v16, off, s[28:31], 0 offset:448 ; 4-byte Folded Spill
	;; [unrolled: 1-line block ×3, first 2 shown]
	v_mul_f64 v[8:9], v[6:7], v[16:17]
	v_fma_f64 v[8:9], v[4:5], v[14:15], v[8:9]
	v_mul_f64 v[4:5], v[4:5], v[16:17]
	v_fma_f64 v[10:11], v[6:7], v[14:15], -v[4:5]
	v_mov_b32_e32 v4, s2
	v_addc_co_u32_e32 v13, vcc, v13, v4, vcc
	v_add_co_u32_e32 v183, vcc, s6, v194
	s_movk_i32 s6, 0x7000
	ds_write_b128 v106, v[8:11] offset:28000
	global_load_dwordx4 v[4:7], v[12:13], off
	global_load_dwordx4 v[14:17], v[18:19], off offset:2944
	v_add_co_u32_e32 v12, vcc, s4, v12
	s_waitcnt vmcnt(0)
	buffer_store_dword v14, off, s[28:31], 0 offset:424 ; 4-byte Folded Spill
	s_nop 0
	buffer_store_dword v15, off, s[28:31], 0 offset:428 ; 4-byte Folded Spill
	buffer_store_dword v16, off, s[28:31], 0 offset:432 ; 4-byte Folded Spill
	buffer_store_dword v17, off, s[28:31], 0 offset:436 ; 4-byte Folded Spill
	v_mul_f64 v[8:9], v[6:7], v[16:17]
	v_fma_f64 v[8:9], v[4:5], v[14:15], v[8:9]
	v_mul_f64 v[4:5], v[4:5], v[16:17]
	v_fma_f64 v[10:11], v[6:7], v[14:15], -v[4:5]
	v_mov_b32_e32 v4, s5
	v_addc_co_u32_e32 v13, vcc, v13, v4, vcc
	v_add_co_u32_e32 v14, vcc, s26, v170
	v_addc_co_u32_e32 v15, vcc, 0, v171, vcc
	global_load_dwordx4 v[16:19], v[14:15], off offset:1808
	global_load_dwordx4 v[4:7], v[12:13], off
	ds_write_b128 v106, v[8:11] offset:48000
	v_add_co_u32_e32 v12, vcc, s3, v12
                                        ; kill: killed $vgpr14 killed $vgpr15
	s_waitcnt vmcnt(1)
	buffer_store_dword v16, off, s[28:31], 0 offset:408 ; 4-byte Folded Spill
	s_nop 0
	buffer_store_dword v17, off, s[28:31], 0 offset:412 ; 4-byte Folded Spill
	buffer_store_dword v18, off, s[28:31], 0 offset:416 ; 4-byte Folded Spill
	;; [unrolled: 1-line block ×3, first 2 shown]
	s_waitcnt vmcnt(4)
	v_mul_f64 v[8:9], v[6:7], v[18:19]
	v_fma_f64 v[8:9], v[4:5], v[16:17], v[8:9]
	v_mul_f64 v[4:5], v[4:5], v[18:19]
	v_fma_f64 v[10:11], v[6:7], v[16:17], -v[4:5]
	v_mov_b32_e32 v4, s2
	v_addc_co_u32_e32 v13, vcc, v13, v4, vcc
	v_add_co_u32_e32 v16, vcc, s6, v170
	v_addc_co_u32_e32 v17, vcc, 0, v171, vcc
	global_load_dwordx4 v[18:21], v[16:17], off offset:1328
	global_load_dwordx4 v[4:7], v[12:13], off
	ds_write_b128 v106, v[8:11] offset:10000
	v_add_co_u32_e32 v12, vcc, s3, v12
	s_mov_b32 s6, 0xc000
                                        ; kill: killed $vgpr16 killed $vgpr17
	s_waitcnt vmcnt(1)
	buffer_store_dword v18, off, s[28:31], 0 offset:392 ; 4-byte Folded Spill
	s_nop 0
	buffer_store_dword v19, off, s[28:31], 0 offset:396 ; 4-byte Folded Spill
	buffer_store_dword v20, off, s[28:31], 0 offset:400 ; 4-byte Folded Spill
	;; [unrolled: 1-line block ×3, first 2 shown]
	s_waitcnt vmcnt(4)
	v_mul_f64 v[8:9], v[6:7], v[20:21]
	v_fma_f64 v[8:9], v[4:5], v[18:19], v[8:9]
	v_mul_f64 v[4:5], v[4:5], v[20:21]
	v_fma_f64 v[10:11], v[6:7], v[18:19], -v[4:5]
	v_mov_b32_e32 v4, s2
	v_addc_co_u32_e32 v13, vcc, v13, v4, vcc
	v_add_co_u32_e32 v18, vcc, s6, v170
	v_addc_co_u32_e32 v19, vcc, 0, v171, vcc
	global_load_dwordx4 v[20:23], v[18:19], off offset:848
	global_load_dwordx4 v[4:7], v[12:13], off
	ds_write_b128 v106, v[8:11] offset:30000
	v_add_co_u32_e32 v12, vcc, s4, v12
	s_movk_i32 s6, 0x3000
                                        ; kill: killed $vgpr18 killed $vgpr19
	s_waitcnt vmcnt(1)
	buffer_store_dword v20, off, s[28:31], 0 offset:376 ; 4-byte Folded Spill
	s_nop 0
	buffer_store_dword v21, off, s[28:31], 0 offset:380 ; 4-byte Folded Spill
	buffer_store_dword v22, off, s[28:31], 0 offset:384 ; 4-byte Folded Spill
	;; [unrolled: 1-line block ×3, first 2 shown]
	s_waitcnt vmcnt(4)
	v_mul_f64 v[8:9], v[6:7], v[22:23]
	v_fma_f64 v[8:9], v[4:5], v[20:21], v[8:9]
	v_mul_f64 v[4:5], v[4:5], v[22:23]
	v_fma_f64 v[10:11], v[6:7], v[20:21], -v[4:5]
	v_mov_b32_e32 v4, s5
	v_addc_co_u32_e32 v13, vcc, v13, v4, vcc
	ds_write_b128 v106, v[8:11] offset:50000
	global_load_dwordx4 v[4:7], v[12:13], off
	global_load_dwordx4 v[20:23], v[14:15], off offset:3808
	v_add_co_u32_e32 v12, vcc, s3, v12
	s_waitcnt vmcnt(0)
	buffer_store_dword v20, off, s[28:31], 0 offset:360 ; 4-byte Folded Spill
	s_nop 0
	buffer_store_dword v21, off, s[28:31], 0 offset:364 ; 4-byte Folded Spill
	buffer_store_dword v22, off, s[28:31], 0 offset:368 ; 4-byte Folded Spill
	buffer_store_dword v23, off, s[28:31], 0 offset:372 ; 4-byte Folded Spill
	v_mul_f64 v[8:9], v[6:7], v[22:23]
	v_fma_f64 v[8:9], v[4:5], v[20:21], v[8:9]
	v_mul_f64 v[4:5], v[4:5], v[22:23]
	v_fma_f64 v[10:11], v[6:7], v[20:21], -v[4:5]
	v_mov_b32_e32 v4, s2
	v_addc_co_u32_e32 v13, vcc, v13, v4, vcc
	ds_write_b128 v106, v[8:11] offset:12000
	global_load_dwordx4 v[4:7], v[12:13], off
	global_load_dwordx4 v[20:23], v[16:17], off offset:3328
	v_add_co_u32_e32 v12, vcc, s3, v12
	s_waitcnt vmcnt(0)
	buffer_store_dword v20, off, s[28:31], 0 offset:344 ; 4-byte Folded Spill
	s_nop 0
	buffer_store_dword v21, off, s[28:31], 0 offset:348 ; 4-byte Folded Spill
	buffer_store_dword v22, off, s[28:31], 0 offset:352 ; 4-byte Folded Spill
	buffer_store_dword v23, off, s[28:31], 0 offset:356 ; 4-byte Folded Spill
	;; [unrolled: 16-line block ×3, first 2 shown]
	v_mul_f64 v[8:9], v[6:7], v[16:17]
	v_fma_f64 v[8:9], v[4:5], v[14:15], v[8:9]
	v_mul_f64 v[4:5], v[4:5], v[16:17]
	v_fma_f64 v[10:11], v[6:7], v[14:15], -v[4:5]
	v_mov_b32_e32 v4, s5
	v_addc_co_u32_e32 v13, vcc, v13, v4, vcc
	v_add_co_u32_e32 v14, vcc, s6, v170
	v_addc_co_u32_e32 v15, vcc, 0, v171, vcc
	global_load_dwordx4 v[16:19], v[14:15], off offset:1712
	global_load_dwordx4 v[4:7], v[12:13], off
	ds_write_b128 v106, v[8:11] offset:52000
	v_add_co_u32_e32 v12, vcc, s3, v12
	s_mov_b32 s6, 0x8000
	s_waitcnt vmcnt(1)
	buffer_store_dword v16, off, s[28:31], 0 offset:296 ; 4-byte Folded Spill
	s_nop 0
	buffer_store_dword v17, off, s[28:31], 0 offset:300 ; 4-byte Folded Spill
	buffer_store_dword v18, off, s[28:31], 0 offset:304 ; 4-byte Folded Spill
	;; [unrolled: 1-line block ×3, first 2 shown]
	s_waitcnt vmcnt(4)
	v_mul_f64 v[8:9], v[6:7], v[18:19]
	v_fma_f64 v[8:9], v[4:5], v[16:17], v[8:9]
	v_mul_f64 v[4:5], v[4:5], v[18:19]
	v_fma_f64 v[10:11], v[6:7], v[16:17], -v[4:5]
	v_mov_b32_e32 v4, s2
	v_addc_co_u32_e32 v13, vcc, v13, v4, vcc
	v_add_co_u32_e32 v16, vcc, s6, v170
	v_addc_co_u32_e32 v17, vcc, 0, v171, vcc
	global_load_dwordx4 v[18:21], v[16:17], off offset:1232
	global_load_dwordx4 v[4:7], v[12:13], off
	ds_write_b128 v106, v[8:11] offset:14000
	v_add_co_u32_e32 v12, vcc, s3, v12
	s_waitcnt vmcnt(1)
	buffer_store_dword v18, off, s[28:31], 0 offset:280 ; 4-byte Folded Spill
	s_nop 0
	buffer_store_dword v19, off, s[28:31], 0 offset:284 ; 4-byte Folded Spill
	buffer_store_dword v20, off, s[28:31], 0 offset:288 ; 4-byte Folded Spill
	;; [unrolled: 1-line block ×3, first 2 shown]
	s_mov_b32 s6, 0xd000
	s_waitcnt vmcnt(4)
	v_mul_f64 v[8:9], v[6:7], v[20:21]
	v_fma_f64 v[8:9], v[4:5], v[18:19], v[8:9]
	v_mul_f64 v[4:5], v[4:5], v[20:21]
	v_fma_f64 v[10:11], v[6:7], v[18:19], -v[4:5]
	v_mov_b32_e32 v4, s2
	v_addc_co_u32_e32 v13, vcc, v13, v4, vcc
	v_add_co_u32_e32 v18, vcc, s6, v170
	v_addc_co_u32_e32 v19, vcc, 0, v171, vcc
	global_load_dwordx4 v[20:23], v[18:19], off offset:752
	global_load_dwordx4 v[4:7], v[12:13], off
	ds_write_b128 v106, v[8:11] offset:34000
	s_waitcnt vmcnt(1)
	buffer_store_dword v20, off, s[28:31], 0 offset:248 ; 4-byte Folded Spill
	s_nop 0
	buffer_store_dword v21, off, s[28:31], 0 offset:252 ; 4-byte Folded Spill
	buffer_store_dword v22, off, s[28:31], 0 offset:256 ; 4-byte Folded Spill
	;; [unrolled: 1-line block ×3, first 2 shown]
	v_add_co_u32_e32 v12, vcc, s4, v12
	s_mov_b32 s6, s8
	s_waitcnt vmcnt(4)
	v_mul_f64 v[8:9], v[6:7], v[22:23]
	v_fma_f64 v[8:9], v[4:5], v[20:21], v[8:9]
	v_mul_f64 v[4:5], v[4:5], v[22:23]
	v_fma_f64 v[10:11], v[6:7], v[20:21], -v[4:5]
	v_mov_b32_e32 v4, s5
	v_addc_co_u32_e32 v13, vcc, v13, v4, vcc
	ds_write_b128 v106, v[8:11] offset:54000
	global_load_dwordx4 v[4:7], v[12:13], off
	global_load_dwordx4 v[20:23], v[14:15], off offset:3712
	s_waitcnt vmcnt(0)
	buffer_store_dword v20, off, s[28:31], 0 offset:232 ; 4-byte Folded Spill
	s_nop 0
	buffer_store_dword v21, off, s[28:31], 0 offset:236 ; 4-byte Folded Spill
	buffer_store_dword v22, off, s[28:31], 0 offset:240 ; 4-byte Folded Spill
	;; [unrolled: 1-line block ×3, first 2 shown]
	v_add_co_u32_e32 v12, vcc, s3, v12
	v_mul_f64 v[8:9], v[6:7], v[22:23]
	v_fma_f64 v[8:9], v[4:5], v[20:21], v[8:9]
	v_mul_f64 v[4:5], v[4:5], v[22:23]
	v_fma_f64 v[10:11], v[6:7], v[20:21], -v[4:5]
	v_mov_b32_e32 v4, s2
	v_addc_co_u32_e32 v13, vcc, v13, v4, vcc
	ds_write_b128 v106, v[8:11] offset:16000
	global_load_dwordx4 v[4:7], v[12:13], off
	s_nop 0
	global_load_dwordx4 v[14:17], v[16:17], off offset:3232
	s_waitcnt vmcnt(0)
	buffer_store_dword v14, off, s[28:31], 0 offset:200 ; 4-byte Folded Spill
	s_nop 0
	buffer_store_dword v15, off, s[28:31], 0 offset:204 ; 4-byte Folded Spill
	buffer_store_dword v16, off, s[28:31], 0 offset:208 ; 4-byte Folded Spill
	;; [unrolled: 1-line block ×3, first 2 shown]
	v_add_co_u32_e32 v12, vcc, s3, v12
	v_mul_f64 v[8:9], v[6:7], v[16:17]
	v_fma_f64 v[8:9], v[4:5], v[14:15], v[8:9]
	v_mul_f64 v[4:5], v[4:5], v[16:17]
	v_fma_f64 v[10:11], v[6:7], v[14:15], -v[4:5]
	v_mov_b32_e32 v4, s2
	v_addc_co_u32_e32 v13, vcc, v13, v4, vcc
	ds_write_b128 v106, v[8:11] offset:36000
	global_load_dwordx4 v[4:7], v[12:13], off
	global_load_dwordx4 v[14:17], v[18:19], off offset:2752
	s_waitcnt vmcnt(0)
	buffer_store_dword v14, off, s[28:31], 0 offset:184 ; 4-byte Folded Spill
	s_nop 0
	buffer_store_dword v15, off, s[28:31], 0 offset:188 ; 4-byte Folded Spill
	buffer_store_dword v16, off, s[28:31], 0 offset:192 ; 4-byte Folded Spill
	;; [unrolled: 1-line block ×3, first 2 shown]
	v_add_co_u32_e32 v12, vcc, s4, v12
	v_mul_f64 v[8:9], v[6:7], v[16:17]
	v_fma_f64 v[8:9], v[4:5], v[14:15], v[8:9]
	v_mul_f64 v[4:5], v[4:5], v[16:17]
	v_fma_f64 v[10:11], v[6:7], v[14:15], -v[4:5]
	v_mov_b32_e32 v4, s5
	v_addc_co_u32_e32 v13, vcc, v13, v4, vcc
	s_mov_b32 s4, 0x372fe950
	s_mov_b32 s5, 0x3fd3c6ef
	;; [unrolled: 1-line block ×3, first 2 shown]
	ds_write_b128 v106, v[8:11] offset:56000
	global_load_dwordx4 v[4:7], v[12:13], off
	global_load_dwordx4 v[14:17], v[0:1], off offset:1616
	s_waitcnt vmcnt(0)
	buffer_store_dword v14, off, s[28:31], 0 offset:456 ; 4-byte Folded Spill
	s_nop 0
	buffer_store_dword v15, off, s[28:31], 0 offset:460 ; 4-byte Folded Spill
	buffer_store_dword v16, off, s[28:31], 0 offset:464 ; 4-byte Folded Spill
	;; [unrolled: 1-line block ×3, first 2 shown]
	v_mul_f64 v[0:1], v[6:7], v[16:17]
	v_fma_f64 v[8:9], v[4:5], v[14:15], v[0:1]
	v_mul_f64 v[0:1], v[4:5], v[16:17]
	v_fma_f64 v[10:11], v[6:7], v[14:15], -v[0:1]
	v_mov_b32_e32 v0, s2
	ds_write_b128 v106, v[8:11] offset:18000
	v_add_co_u32_e32 v8, vcc, s3, v12
	v_addc_co_u32_e32 v9, vcc, v13, v0, vcc
	global_load_dwordx4 v[4:7], v[8:9], off
	global_load_dwordx4 v[10:13], v[2:3], off offset:1136
	s_waitcnt vmcnt(0)
	buffer_store_dword v10, off, s[28:31], 0 offset:472 ; 4-byte Folded Spill
	s_nop 0
	buffer_store_dword v11, off, s[28:31], 0 offset:476 ; 4-byte Folded Spill
	buffer_store_dword v12, off, s[28:31], 0 offset:480 ; 4-byte Folded Spill
	;; [unrolled: 1-line block ×3, first 2 shown]
	v_mul_f64 v[0:1], v[6:7], v[12:13]
	v_mul_f64 v[2:3], v[4:5], v[12:13]
	v_fma_f64 v[0:1], v[4:5], v[10:11], v[0:1]
	v_fma_f64 v[2:3], v[6:7], v[10:11], -v[2:3]
	ds_write_b128 v106, v[0:3] offset:38000
	v_add_co_u32_e32 v0, vcc, s3, v8
	v_mov_b32_e32 v1, s2
	v_addc_co_u32_e32 v1, vcc, v9, v1, vcc
	s_mov_b32 s2, 0xe000
	v_add_co_u32_e32 v4, vcc, s2, v170
	v_addc_co_u32_e32 v5, vcc, 0, v171, vcc
	global_load_dwordx4 v[0:3], v[0:1], off
	s_nop 0
	buffer_store_dword v4, off, s[28:31], 0 offset:1784 ; 4-byte Folded Spill
	s_nop 0
	buffer_store_dword v5, off, s[28:31], 0 offset:1788 ; 4-byte Folded Spill
	s_movk_i32 s2, 0xab
	global_load_dwordx4 v[4:7], v[4:5], off offset:656
	s_waitcnt vmcnt(0)
	v_mov_b32_e32 v9, v7
	v_mov_b32_e32 v8, v6
	;; [unrolled: 1-line block ×4, first 2 shown]
	v_mul_f64 v[4:5], v[2:3], v[8:9]
	v_fma_f64 v[4:5], v[0:1], v[6:7], v[4:5]
	v_mul_f64 v[0:1], v[0:1], v[8:9]
	buffer_store_dword v6, off, s[28:31], 0 offset:8 ; 4-byte Folded Spill
	s_nop 0
	buffer_store_dword v7, off, s[28:31], 0 offset:12 ; 4-byte Folded Spill
	buffer_store_dword v8, off, s[28:31], 0 offset:16 ; 4-byte Folded Spill
	;; [unrolled: 1-line block ×3, first 2 shown]
	v_fma_f64 v[6:7], v[2:3], v[6:7], -v[0:1]
	ds_write_b128 v106, v[4:7] offset:58000
	s_waitcnt vmcnt(0) lgkmcnt(0)
	s_barrier
	ds_read_b128 v[12:15], v106
	ds_read_b128 v[36:39], v106 offset:20000
	ds_read_b128 v[40:43], v106 offset:40000
	;; [unrolled: 1-line block ×29, first 2 shown]
	s_waitcnt lgkmcnt(14)
	v_add_f64 v[16:17], v[12:13], v[36:37]
	v_add_f64 v[18:19], v[38:39], -v[42:43]
	s_waitcnt lgkmcnt(0)
	s_barrier
	v_add_f64 v[20:21], v[16:17], v[40:41]
	v_add_f64 v[16:17], v[36:37], v[40:41]
	v_add_f64 v[36:37], v[36:37], -v[40:41]
	v_fma_f64 v[12:13], v[16:17], -0.5, v[12:13]
	v_fma_f64 v[16:17], v[18:19], s[16:17], v[12:13]
	v_fma_f64 v[12:13], v[18:19], s[18:19], v[12:13]
	v_add_f64 v[18:19], v[14:15], v[38:39]
	v_add_f64 v[22:23], v[18:19], v[42:43]
	v_add_f64 v[18:19], v[38:39], v[42:43]
	v_add_f64 v[38:39], v[66:67], -v[70:71]
	v_fma_f64 v[14:15], v[18:19], -0.5, v[14:15]
	v_fma_f64 v[18:19], v[36:37], s[18:19], v[14:15]
	v_fma_f64 v[14:15], v[36:37], s[16:17], v[14:15]
	v_add_f64 v[36:37], v[60:61], v[64:65]
	v_add_f64 v[44:45], v[36:37], v[68:69]
	v_add_f64 v[36:37], v[64:65], v[68:69]
	v_fma_f64 v[36:37], v[36:37], -0.5, v[60:61]
	v_add_f64 v[60:61], v[64:65], -v[68:69]
	v_fma_f64 v[40:41], v[38:39], s[16:17], v[36:37]
	v_fma_f64 v[36:37], v[38:39], s[18:19], v[36:37]
	v_add_f64 v[38:39], v[62:63], v[66:67]
	v_add_f64 v[46:47], v[38:39], v[70:71]
	v_add_f64 v[38:39], v[66:67], v[70:71]
	v_fma_f64 v[38:39], v[38:39], -0.5, v[62:63]
	v_add_f64 v[62:63], v[78:79], -v[82:83]
	;; [unrolled: 7-line block ×5, first 2 shown]
	v_add_f64 v[120:121], v[134:135], -v[138:139]
	v_fma_f64 v[76:77], v[74:75], s[16:17], v[72:73]
	v_fma_f64 v[72:73], v[74:75], s[18:19], v[72:73]
	v_add_f64 v[74:75], v[98:99], v[102:103]
	v_add_f64 v[82:83], v[74:75], v[122:123]
	;; [unrolled: 1-line block ×3, first 2 shown]
	v_add_f64 v[122:123], v[114:115], -v[118:119]
	v_fma_f64 v[74:75], v[74:75], -0.5, v[98:99]
	v_add_f64 v[98:99], v[136:137], -v[140:141]
	v_fma_f64 v[78:79], v[96:97], s[18:19], v[74:75]
	v_fma_f64 v[74:75], v[96:97], s[16:17], v[74:75]
	v_add_f64 v[96:97], v[124:125], v[134:135]
	v_add_f64 v[128:129], v[96:97], v[138:139]
	;; [unrolled: 1-line block ×3, first 2 shown]
	v_fma_f64 v[96:97], v[96:97], -0.5, v[124:125]
	v_fma_f64 v[100:101], v[98:99], s[16:17], v[96:97]
	v_fma_f64 v[96:97], v[98:99], s[18:19], v[96:97]
	v_add_f64 v[98:99], v[126:127], v[136:137]
	v_add_f64 v[130:131], v[98:99], v[140:141]
	;; [unrolled: 1-line block ×3, first 2 shown]
	v_fma_f64 v[98:99], v[98:99], -0.5, v[126:127]
	v_fma_f64 v[102:103], v[120:121], s[18:19], v[98:99]
	v_fma_f64 v[98:99], v[120:121], s[16:17], v[98:99]
	v_add_f64 v[120:121], v[108:109], v[112:113]
	v_add_f64 v[124:125], v[120:121], v[116:117]
	;; [unrolled: 1-line block ×3, first 2 shown]
	v_add_f64 v[112:113], v[112:113], -v[116:117]
	v_add_f64 v[116:117], v[86:87], -v[90:91]
	v_fma_f64 v[108:109], v[120:121], -0.5, v[108:109]
	v_fma_f64 v[120:121], v[122:123], s[16:17], v[108:109]
	v_fma_f64 v[108:109], v[122:123], s[18:19], v[108:109]
	v_add_f64 v[122:123], v[110:111], v[114:115]
	v_add_f64 v[114:115], v[114:115], v[118:119]
	;; [unrolled: 1-line block ×3, first 2 shown]
	v_fma_f64 v[110:111], v[114:115], -0.5, v[110:111]
	v_add_f64 v[114:115], v[84:85], v[88:89]
	v_fma_f64 v[122:123], v[112:113], s[18:19], v[110:111]
	v_fma_f64 v[114:115], v[114:115], -0.5, v[92:93]
	v_fma_f64 v[110:111], v[112:113], s[16:17], v[110:111]
	v_add_f64 v[112:113], v[92:93], v[84:85]
	v_add_f64 v[84:85], v[84:85], -v[88:89]
	v_fma_f64 v[92:93], v[116:117], s[16:17], v[114:115]
	v_fma_f64 v[116:117], v[116:117], s[18:19], v[114:115]
	v_add_f64 v[114:115], v[94:95], v[86:87]
	v_add_f64 v[86:87], v[86:87], v[90:91]
	;; [unrolled: 1-line block ×3, first 2 shown]
	v_add_f64 v[88:89], v[50:51], -v[54:55]
	v_add_f64 v[114:115], v[114:115], v[90:91]
	v_fma_f64 v[86:87], v[86:87], -0.5, v[94:95]
	v_fma_f64 v[94:95], v[84:85], s[18:19], v[86:87]
	v_fma_f64 v[118:119], v[84:85], s[16:17], v[86:87]
	v_add_f64 v[86:87], v[48:49], v[52:53]
	v_add_f64 v[84:85], v[56:57], v[48:49]
	v_add_f64 v[48:49], v[48:49], -v[52:53]
	v_fma_f64 v[86:87], v[86:87], -0.5, v[56:57]
	v_add_f64 v[84:85], v[84:85], v[52:53]
	v_add_f64 v[52:53], v[26:27], -v[30:31]
	v_fma_f64 v[56:57], v[88:89], s[16:17], v[86:87]
	v_fma_f64 v[88:89], v[88:89], s[18:19], v[86:87]
	v_add_f64 v[86:87], v[58:59], v[50:51]
	v_add_f64 v[50:51], v[50:51], v[54:55]
	;; [unrolled: 1-line block ×3, first 2 shown]
	v_fma_f64 v[50:51], v[50:51], -0.5, v[58:59]
	v_fma_f64 v[58:59], v[48:49], s[18:19], v[50:51]
	v_fma_f64 v[90:91], v[48:49], s[16:17], v[50:51]
	v_add_f64 v[50:51], v[24:25], v[28:29]
	v_add_f64 v[48:49], v[32:33], v[24:25]
	v_add_f64 v[24:25], v[24:25], -v[28:29]
	v_fma_f64 v[50:51], v[50:51], -0.5, v[32:33]
	v_add_f64 v[48:49], v[48:49], v[28:29]
	v_add_f64 v[28:29], v[2:3], -v[6:7]
	v_fma_f64 v[32:33], v[52:53], s[16:17], v[50:51]
	v_fma_f64 v[52:53], v[52:53], s[18:19], v[50:51]
	v_add_f64 v[50:51], v[34:35], v[26:27]
	v_add_f64 v[26:27], v[26:27], v[30:31]
	;; [unrolled: 1-line block ×3, first 2 shown]
	v_fma_f64 v[26:27], v[26:27], -0.5, v[34:35]
	v_fma_f64 v[34:35], v[24:25], s[18:19], v[26:27]
	v_fma_f64 v[54:55], v[24:25], s[16:17], v[26:27]
	v_add_f64 v[26:27], v[0:1], v[4:5]
	v_add_f64 v[24:25], v[8:9], v[0:1]
	v_add_f64 v[0:1], v[0:1], -v[4:5]
	v_fma_f64 v[26:27], v[26:27], -0.5, v[8:9]
	v_add_f64 v[24:25], v[24:25], v[4:5]
	v_fma_f64 v[8:9], v[28:29], s[16:17], v[26:27]
	v_fma_f64 v[28:29], v[28:29], s[18:19], v[26:27]
	v_add_f64 v[26:27], v[10:11], v[2:3]
	v_add_f64 v[2:3], v[2:3], v[6:7]
	;; [unrolled: 1-line block ×3, first 2 shown]
	v_fma_f64 v[2:3], v[2:3], -0.5, v[10:11]
	v_fma_f64 v[10:11], v[0:1], s[18:19], v[2:3]
	v_fma_f64 v[30:31], v[0:1], s[16:17], v[2:3]
	v_mul_lo_u16_e32 v0, 3, v194
	v_lshlrev_b32_e32 v0, 4, v0
	ds_write_b128 v0, v[20:23]
	ds_write_b128 v0, v[16:19] offset:16
	buffer_store_dword v0, off, s[28:31], 0 offset:592 ; 4-byte Folded Spill
	ds_write_b128 v0, v[12:15] offset:32
	v_mul_u32_u24_e32 v0, 3, v107
	v_lshlrev_b32_e32 v0, 4, v0
	buffer_store_dword v0, off, s[28:31], 0 offset:588 ; 4-byte Folded Spill
	ds_write_b128 v0, v[44:47]
	ds_write_b128 v0, v[40:43] offset:16
	ds_write_b128 v0, v[36:39] offset:32
	v_mul_u32_u24_e32 v0, 3, v180
	v_lshlrev_b32_e32 v0, 4, v0
	buffer_store_dword v0, off, s[28:31], 0 offset:584 ; 4-byte Folded Spill
	ds_write_b128 v0, v[68:71]
	ds_write_b128 v0, v[64:67] offset:16
	;; [unrolled: 6-line block ×6, first 2 shown]
	ds_write_b128 v0, v[116:119] offset:32
	v_mul_u32_u24_e32 v0, 3, v105
	v_mul_lo_u16_sdwa v104, v194, s2 dst_sel:DWORD dst_unused:UNUSED_PAD src0_sel:BYTE_0 src1_sel:DWORD
	v_lshlrev_b32_e32 v0, 4, v0
	v_lshrrev_b16_e32 v174, 9, v104
	buffer_store_dword v0, off, s[28:31], 0 offset:532 ; 4-byte Folded Spill
	ds_write_b128 v0, v[84:87]
	ds_write_b128 v0, v[56:59] offset:16
	ds_write_b128 v0, v[88:91] offset:32
	v_mul_u32_u24_e32 v0, 3, v132
	v_mul_lo_u16_e32 v104, 3, v174
	v_lshlrev_b32_e32 v0, 4, v0
	v_sub_u16_e32 v104, v194, v104
	buffer_store_dword v0, off, s[28:31], 0 offset:496 ; 4-byte Folded Spill
	ds_write_b128 v0, v[48:51]
	ds_write_b128 v0, v[32:35] offset:16
	ds_write_b128 v0, v[52:55] offset:32
	v_mul_u32_u24_e32 v0, 3, v133
	v_and_b32_e32 v175, 0xff, v104
	v_lshlrev_b32_e32 v0, 4, v0
	v_lshlrev_b32_e32 v104, 6, v175
	buffer_store_dword v0, off, s[28:31], 0 offset:492 ; 4-byte Folded Spill
	ds_write_b128 v0, v[24:27]
	ds_write_b128 v0, v[8:11] offset:16
	ds_write_b128 v0, v[28:31] offset:32
	s_waitcnt vmcnt(0) lgkmcnt(0)
	s_barrier
	ds_read_b128 v[28:31], v106
	ds_read_b128 v[88:91], v106 offset:12000
	ds_read_b128 v[92:95], v106 offset:24000
	;; [unrolled: 1-line block ×29, first 2 shown]
	global_load_dwordx4 v[124:127], v104, s[10:11] offset:48
	global_load_dwordx4 v[128:131], v104, s[10:11] offset:32
	;; [unrolled: 1-line block ×3, first 2 shown]
	global_load_dwordx4 v[136:139], v104, s[10:11]
	s_waitcnt vmcnt(0)
	buffer_store_dword v136, off, s[28:31], 0 offset:552 ; 4-byte Folded Spill
	s_nop 0
	buffer_store_dword v137, off, s[28:31], 0 offset:556 ; 4-byte Folded Spill
	buffer_store_dword v138, off, s[28:31], 0 offset:560 ; 4-byte Folded Spill
	buffer_store_dword v139, off, s[28:31], 0 offset:564 ; 4-byte Folded Spill
	buffer_store_dword v132, off, s[28:31], 0 offset:536 ; 4-byte Folded Spill
	s_nop 0
	buffer_store_dword v133, off, s[28:31], 0 offset:540 ; 4-byte Folded Spill
	buffer_store_dword v134, off, s[28:31], 0 offset:544 ; 4-byte Folded Spill
	buffer_store_dword v135, off, s[28:31], 0 offset:548 ; 4-byte Folded Spill
	;; [unrolled: 5-line block ×4, first 2 shown]
	s_waitcnt lgkmcnt(14)
	v_mul_f64 v[104:105], v[90:91], v[138:139]
	v_fma_f64 v[162:163], v[88:89], v[136:137], -v[104:105]
	v_mul_f64 v[88:89], v[88:89], v[138:139]
	v_fma_f64 v[146:147], v[90:91], v[136:137], v[88:89]
	v_mul_f64 v[88:89], v[94:95], v[134:135]
	v_fma_f64 v[164:165], v[92:93], v[132:133], -v[88:89]
	v_mul_f64 v[88:89], v[92:93], v[134:135]
	v_fma_f64 v[148:149], v[94:95], v[132:133], v[88:89]
	;; [unrolled: 4-line block ×4, first 2 shown]
	v_mul_lo_u16_sdwa v88, v107, s2 dst_sel:DWORD dst_unused:UNUSED_PAD src0_sel:BYTE_0 src1_sel:DWORD
	v_lshrrev_b16_e32 v184, 9, v88
	v_mul_lo_u16_e32 v88, 3, v184
	v_sub_u16_e32 v88, v107, v88
	v_and_b32_e32 v185, 0xff, v88
	v_lshlrev_b32_e32 v88, 6, v185
	global_load_dwordx4 v[90:93], v88, s[10:11] offset:48
	s_waitcnt vmcnt(0)
	buffer_store_dword v90, off, s[28:31], 0 offset:596 ; 4-byte Folded Spill
	s_nop 0
	buffer_store_dword v91, off, s[28:31], 0 offset:600 ; 4-byte Folded Spill
	buffer_store_dword v92, off, s[28:31], 0 offset:604 ; 4-byte Folded Spill
	buffer_store_dword v93, off, s[28:31], 0 offset:608 ; 4-byte Folded Spill
	global_load_dwordx4 v[94:97], v88, s[10:11] offset:32
	s_waitcnt vmcnt(0)
	buffer_store_dword v94, off, s[28:31], 0 offset:612 ; 4-byte Folded Spill
	s_nop 0
	buffer_store_dword v95, off, s[28:31], 0 offset:616 ; 4-byte Folded Spill
	buffer_store_dword v96, off, s[28:31], 0 offset:620 ; 4-byte Folded Spill
	buffer_store_dword v97, off, s[28:31], 0 offset:624 ; 4-byte Folded Spill
	global_load_dwordx4 v[98:101], v88, s[10:11] offset:16
	s_waitcnt vmcnt(0)
	buffer_store_dword v98, off, s[28:31], 0 offset:628 ; 4-byte Folded Spill
	s_nop 0
	buffer_store_dword v99, off, s[28:31], 0 offset:632 ; 4-byte Folded Spill
	buffer_store_dword v100, off, s[28:31], 0 offset:636 ; 4-byte Folded Spill
	buffer_store_dword v101, off, s[28:31], 0 offset:640 ; 4-byte Folded Spill
	global_load_dwordx4 v[102:105], v88, s[10:11]
	s_waitcnt vmcnt(0)
	buffer_store_dword v102, off, s[28:31], 0 offset:644 ; 4-byte Folded Spill
	s_nop 0
	buffer_store_dword v103, off, s[28:31], 0 offset:648 ; 4-byte Folded Spill
	buffer_store_dword v104, off, s[28:31], 0 offset:652 ; 4-byte Folded Spill
	buffer_store_dword v105, off, s[28:31], 0 offset:656 ; 4-byte Folded Spill
	s_mov_b32 s2, 0xaaab
	v_mul_f64 v[88:89], v[110:111], v[104:105]
	v_fma_f64 v[154:155], v[108:109], v[102:103], -v[88:89]
	v_mul_f64 v[88:89], v[108:109], v[104:105]
	v_fma_f64 v[130:131], v[110:111], v[102:103], v[88:89]
	v_mul_f64 v[88:89], v[114:115], v[100:101]
	v_fma_f64 v[156:157], v[112:113], v[98:99], -v[88:89]
	v_mul_f64 v[88:89], v[112:113], v[100:101]
	v_fma_f64 v[132:133], v[114:115], v[98:99], v[88:89]
	;; [unrolled: 4-line block ×4, first 2 shown]
	v_mul_u32_u24_sdwa v88, v180, s2 dst_sel:DWORD dst_unused:UNUSED_PAD src0_sel:WORD_0 src1_sel:DWORD
	v_lshrrev_b32_e32 v186, 17, v88
	v_mul_lo_u16_e32 v88, 3, v186
	v_sub_u16_e32 v187, v180, v88
	v_lshlrev_b16_e32 v88, 2, v187
	v_lshlrev_b32_e32 v88, 4, v88
	global_load_dwordx4 v[90:93], v88, s[10:11] offset:48
	global_load_dwordx4 v[94:97], v88, s[10:11] offset:32
	global_load_dwordx4 v[98:101], v88, s[10:11] offset:16
	global_load_dwordx4 v[102:105], v88, s[10:11]
	s_waitcnt vmcnt(0)
	v_mul_f64 v[88:89], v[86:87], v[104:105]
	v_fma_f64 v[138:139], v[84:85], v[102:103], -v[88:89]
	buffer_store_dword v102, off, s[28:31], 0 offset:732 ; 4-byte Folded Spill
	s_nop 0
	buffer_store_dword v103, off, s[28:31], 0 offset:736 ; 4-byte Folded Spill
	buffer_store_dword v104, off, s[28:31], 0 offset:740 ; 4-byte Folded Spill
	buffer_store_dword v105, off, s[28:31], 0 offset:744 ; 4-byte Folded Spill
	buffer_store_dword v98, off, s[28:31], 0 offset:748 ; 4-byte Folded Spill
	s_nop 0
	buffer_store_dword v99, off, s[28:31], 0 offset:752 ; 4-byte Folded Spill
	buffer_store_dword v100, off, s[28:31], 0 offset:756 ; 4-byte Folded Spill
	buffer_store_dword v101, off, s[28:31], 0 offset:760 ; 4-byte Folded Spill
	;; [unrolled: 5-line block ×4, first 2 shown]
	v_mul_f64 v[84:85], v[84:85], v[104:105]
	v_fma_f64 v[84:85], v[86:87], v[102:103], v[84:85]
	v_mul_f64 v[86:87], v[82:83], v[100:101]
	v_fma_f64 v[140:141], v[80:81], v[98:99], -v[86:87]
	v_mul_f64 v[80:81], v[80:81], v[100:101]
	v_fma_f64 v[80:81], v[82:83], v[98:99], v[80:81]
	v_mul_f64 v[82:83], v[78:79], v[96:97]
	v_fma_f64 v[142:143], v[76:77], v[94:95], -v[82:83]
	;; [unrolled: 4-line block ×3, first 2 shown]
	v_mul_f64 v[72:73], v[72:73], v[92:93]
	v_fma_f64 v[72:73], v[74:75], v[90:91], v[72:73]
	v_mul_u32_u24_sdwa v74, v181, s2 dst_sel:DWORD dst_unused:UNUSED_PAD src0_sel:WORD_0 src1_sel:DWORD
	v_lshrrev_b32_e32 v188, 17, v74
	v_mul_lo_u16_e32 v74, 3, v188
	v_sub_u16_e32 v189, v181, v74
	v_lshlrev_b16_e32 v74, 2, v189
	v_lshlrev_b32_e32 v74, 4, v74
	global_load_dwordx4 v[92:95], v74, s[10:11] offset:48
	global_load_dwordx4 v[96:99], v74, s[10:11] offset:32
	global_load_dwordx4 v[88:91], v74, s[10:11] offset:16
	global_load_dwordx4 v[100:103], v74, s[10:11]
	s_waitcnt vmcnt(0) lgkmcnt(13)
	v_mul_f64 v[74:75], v[70:71], v[102:103]
	v_fma_f64 v[78:79], v[68:69], v[100:101], -v[74:75]
	buffer_store_dword v100, off, s[28:31], 0 offset:928 ; 4-byte Folded Spill
	s_nop 0
	buffer_store_dword v101, off, s[28:31], 0 offset:932 ; 4-byte Folded Spill
	buffer_store_dword v102, off, s[28:31], 0 offset:936 ; 4-byte Folded Spill
	;; [unrolled: 1-line block ×4, first 2 shown]
	s_nop 0
	buffer_store_dword v89, off, s[28:31], 0 offset:948 ; 4-byte Folded Spill
	buffer_store_dword v90, off, s[28:31], 0 offset:952 ; 4-byte Folded Spill
	;; [unrolled: 1-line block ×3, first 2 shown]
	v_add_f64 v[74:75], v[138:139], -v[144:145]
	v_mul_f64 v[68:69], v[68:69], v[102:103]
	v_fma_f64 v[86:87], v[70:71], v[100:101], v[68:69]
	s_waitcnt lgkmcnt(12)
	v_mul_f64 v[68:69], v[66:67], v[90:91]
	v_add_f64 v[70:71], v[142:143], -v[144:145]
	v_fma_f64 v[82:83], v[64:65], v[88:89], -v[68:69]
	v_mul_f64 v[64:65], v[64:65], v[90:91]
	v_fma_f64 v[88:89], v[66:67], v[88:89], v[64:65]
	v_mov_b32_e32 v66, v96
	v_mov_b32_e32 v67, v97
	;; [unrolled: 1-line block ×4, first 2 shown]
	buffer_store_dword v66, off, s[28:31], 0 offset:960 ; 4-byte Folded Spill
	s_nop 0
	buffer_store_dword v67, off, s[28:31], 0 offset:964 ; 4-byte Folded Spill
	buffer_store_dword v68, off, s[28:31], 0 offset:968 ; 4-byte Folded Spill
	;; [unrolled: 1-line block ×4, first 2 shown]
	s_nop 0
	buffer_store_dword v93, off, s[28:31], 0 offset:996 ; 4-byte Folded Spill
	buffer_store_dword v94, off, s[28:31], 0 offset:1000 ; 4-byte Folded Spill
	;; [unrolled: 1-line block ×3, first 2 shown]
	s_waitcnt lgkmcnt(11)
	v_mul_f64 v[64:65], v[62:63], v[68:69]
	v_fma_f64 v[96:97], v[60:61], v[66:67], -v[64:65]
	v_mul_f64 v[60:61], v[60:61], v[68:69]
	v_fma_f64 v[90:91], v[62:63], v[66:67], v[60:61]
	s_waitcnt lgkmcnt(10)
	v_mul_f64 v[60:61], v[58:59], v[94:95]
	v_fma_f64 v[100:101], v[56:57], v[92:93], -v[60:61]
	v_mul_f64 v[56:57], v[56:57], v[94:95]
	v_fma_f64 v[92:93], v[58:59], v[92:93], v[56:57]
	v_mul_u32_u24_sdwa v56, v182, s2 dst_sel:DWORD dst_unused:UNUSED_PAD src0_sel:WORD_0 src1_sel:DWORD
	v_lshrrev_b32_e32 v190, 17, v56
	v_mul_lo_u16_e32 v56, 3, v190
	v_sub_u16_e32 v191, v182, v56
	v_lshlrev_b16_e32 v56, 2, v191
	v_lshlrev_b32_e32 v56, 4, v56
	global_load_dwordx4 v[58:61], v56, s[10:11] offset:48
	global_load_dwordx4 v[62:65], v56, s[10:11] offset:32
	;; [unrolled: 1-line block ×3, first 2 shown]
	global_load_dwordx4 v[248:251], v56, s[10:11]
	s_waitcnt vmcnt(1)
	buffer_store_dword v66, off, s[28:31], 0 offset:1140 ; 4-byte Folded Spill
	s_nop 0
	buffer_store_dword v67, off, s[28:31], 0 offset:1144 ; 4-byte Folded Spill
	buffer_store_dword v68, off, s[28:31], 0 offset:1148 ; 4-byte Folded Spill
	buffer_store_dword v69, off, s[28:31], 0 offset:1152 ; 4-byte Folded Spill
	buffer_store_dword v62, off, s[28:31], 0 offset:1156 ; 4-byte Folded Spill
	s_nop 0
	buffer_store_dword v63, off, s[28:31], 0 offset:1160 ; 4-byte Folded Spill
	buffer_store_dword v64, off, s[28:31], 0 offset:1164 ; 4-byte Folded Spill
	buffer_store_dword v65, off, s[28:31], 0 offset:1168 ; 4-byte Folded Spill
	;; [unrolled: 5-line block ×3, first 2 shown]
	s_waitcnt vmcnt(12) lgkmcnt(8)
	v_mul_f64 v[56:57], v[54:55], v[250:251]
	v_fma_f64 v[94:95], v[52:53], v[248:249], -v[56:57]
	v_mul_f64 v[52:53], v[52:53], v[250:251]
	v_add_f64 v[56:57], v[154:155], -v[160:161]
	v_fma_f64 v[102:103], v[54:55], v[248:249], v[52:53]
	v_add_f64 v[54:55], v[158:159], -v[160:161]
	s_waitcnt lgkmcnt(7)
	v_mul_f64 v[52:53], v[50:51], v[68:69]
	v_fma_f64 v[98:99], v[48:49], v[66:67], -v[52:53]
	v_mul_f64 v[48:49], v[48:49], v[68:69]
	v_add_f64 v[52:53], v[160:161], -v[158:159]
	v_add_f64 v[68:69], v[144:145], -v[142:143]
	v_fma_f64 v[120:121], v[50:51], v[66:67], v[48:49]
	s_waitcnt lgkmcnt(6)
	v_mul_f64 v[48:49], v[46:47], v[64:65]
	v_add_f64 v[50:51], v[132:133], -v[134:135]
	v_add_f64 v[66:67], v[80:81], -v[76:77]
	v_fma_f64 v[126:127], v[44:45], v[62:63], -v[48:49]
	v_mul_f64 v[44:45], v[44:45], v[64:65]
	v_add_f64 v[48:49], v[154:155], -v[156:157]
	v_add_f64 v[64:65], v[138:139], -v[140:141]
	v_fma_f64 v[122:123], v[46:47], v[62:63], v[44:45]
	s_waitcnt lgkmcnt(5)
	v_mul_f64 v[44:45], v[42:43], v[60:61]
	v_add_f64 v[46:47], v[150:151], -v[152:153]
	v_add_f64 v[52:53], v[48:49], v[52:53]
	v_add_f64 v[62:63], v[134:135], -v[136:137]
	v_add_f64 v[68:69], v[64:65], v[68:69]
	v_fma_f64 v[128:129], v[40:41], v[58:59], -v[44:45]
	v_mul_f64 v[40:41], v[40:41], v[60:61]
	v_add_f64 v[44:45], v[152:153], -v[150:151]
	v_add_f64 v[60:61], v[136:137], -v[134:135]
	v_fma_f64 v[124:125], v[42:43], v[58:59], v[40:41]
	v_mul_u32_u24_sdwa v40, v183, s2 dst_sel:DWORD dst_unused:UNUSED_PAD src0_sel:WORD_0 src1_sel:DWORD
	v_lshrrev_b32_e32 v192, 17, v40
	v_mul_lo_u16_e32 v40, 3, v192
	v_sub_u16_e32 v193, v183, v40
	v_lshlrev_b16_e32 v40, 2, v193
	v_lshlrev_b32_e32 v40, 4, v40
	global_load_dwordx4 v[244:247], v40, s[10:11] offset:48
	global_load_dwordx4 v[232:235], v40, s[10:11] offset:32
	;; [unrolled: 1-line block ×3, first 2 shown]
	global_load_dwordx4 v[176:179], v40, s[10:11]
	s_mov_b32 s2, 0x134454ff
	s_mov_b32 s3, 0x3fee6f0e
	;; [unrolled: 1-line block ×3, first 2 shown]
	v_add_f64 v[42:43], v[164:165], -v[166:167]
	v_add_f64 v[58:59], v[156:157], -v[158:159]
	s_waitcnt vmcnt(0) lgkmcnt(0)
	s_barrier
	v_mul_f64 v[40:41], v[34:35], v[178:179]
	v_fma_f64 v[112:113], v[32:33], v[176:177], -v[40:41]
	v_mul_f64 v[32:33], v[32:33], v[178:179]
	v_add_f64 v[40:41], v[162:163], -v[168:169]
	v_fma_f64 v[104:105], v[34:35], v[176:177], v[32:33]
	v_mul_f64 v[32:33], v[26:27], v[226:227]
	v_add_f64 v[34:35], v[166:167], -v[168:169]
	v_fma_f64 v[114:115], v[24:25], v[224:225], -v[32:33]
	v_mul_f64 v[24:25], v[24:25], v[226:227]
	v_add_f64 v[32:33], v[168:169], -v[166:167]
	v_fma_f64 v[172:173], v[26:27], v[224:225], v[24:25]
	v_mul_f64 v[24:25], v[22:23], v[234:235]
	v_add_f64 v[26:27], v[148:149], -v[150:151]
	;; [unrolled: 6-line block ×3, first 2 shown]
	v_add_f64 v[32:33], v[24:25], v[32:33]
	v_fma_f64 v[118:119], v[16:17], v[244:245], -v[20:21]
	v_mul_f64 v[16:17], v[16:17], v[246:247]
	v_fma_f64 v[110:111], v[18:19], v[244:245], v[16:17]
	v_add_f64 v[18:19], v[164:165], v[166:167]
	v_add_f64 v[16:17], v[28:29], v[162:163]
	v_fma_f64 v[18:19], v[18:19], -0.5, v[28:29]
	v_add_f64 v[16:17], v[16:17], v[164:165]
	v_fma_f64 v[20:21], v[22:23], s[2:3], v[18:19]
	v_fma_f64 v[18:19], v[22:23], s[14:15], v[18:19]
	v_add_f64 v[16:17], v[16:17], v[166:167]
	v_fma_f64 v[20:21], v[26:27], s[8:9], v[20:21]
	v_fma_f64 v[18:19], v[26:27], s[6:7], v[18:19]
	;; [unrolled: 3-line block ×3, first 2 shown]
	v_add_f64 v[18:19], v[162:163], v[168:169]
	v_add_f64 v[32:33], v[164:165], -v[162:163]
	v_fma_f64 v[18:19], v[18:19], -0.5, v[28:29]
	v_add_f64 v[34:35], v[32:33], v[34:35]
	v_fma_f64 v[28:29], v[26:27], s[14:15], v[18:19]
	v_fma_f64 v[18:19], v[26:27], s[2:3], v[18:19]
	;; [unrolled: 1-line block ×4, first 2 shown]
	v_add_f64 v[22:23], v[148:149], v[150:151]
	v_fma_f64 v[32:33], v[34:35], s[4:5], v[28:29]
	v_fma_f64 v[28:29], v[34:35], s[4:5], v[18:19]
	v_fma_f64 v[22:23], v[22:23], -0.5, v[30:31]
	v_add_f64 v[34:35], v[146:147], -v[148:149]
	v_add_f64 v[18:19], v[30:31], v[146:147]
	v_fma_f64 v[26:27], v[40:41], s[14:15], v[22:23]
	v_fma_f64 v[22:23], v[40:41], s[2:3], v[22:23]
	v_add_f64 v[34:35], v[34:35], v[44:45]
	v_add_f64 v[44:45], v[148:149], -v[146:147]
	v_add_f64 v[18:19], v[18:19], v[148:149]
	v_fma_f64 v[26:27], v[42:43], s[6:7], v[26:27]
	v_fma_f64 v[22:23], v[42:43], s[8:9], v[22:23]
	v_add_f64 v[44:45], v[44:45], v[46:47]
	;; [unrolled: 5-line block ×3, first 2 shown]
	v_add_f64 v[18:19], v[18:19], v[152:153]
	v_fma_f64 v[30:31], v[34:35], -0.5, v[30:31]
	v_fma_f64 v[34:35], v[42:43], s[2:3], v[30:31]
	v_fma_f64 v[30:31], v[42:43], s[14:15], v[30:31]
	v_add_f64 v[42:43], v[156:157], v[158:159]
	v_fma_f64 v[34:35], v[40:41], s[6:7], v[34:35]
	v_fma_f64 v[30:31], v[40:41], s[8:9], v[30:31]
	v_fma_f64 v[42:43], v[42:43], -0.5, v[36:37]
	v_add_f64 v[40:41], v[36:37], v[154:155]
	v_fma_f64 v[34:35], v[44:45], s[4:5], v[34:35]
	v_fma_f64 v[30:31], v[44:45], s[4:5], v[30:31]
	;; [unrolled: 1-line block ×4, first 2 shown]
	v_add_f64 v[40:41], v[40:41], v[156:157]
	v_fma_f64 v[44:45], v[50:51], s[8:9], v[44:45]
	v_fma_f64 v[42:43], v[50:51], s[6:7], v[42:43]
	v_add_f64 v[40:41], v[40:41], v[158:159]
	v_fma_f64 v[48:49], v[52:53], s[4:5], v[44:45]
	v_fma_f64 v[44:45], v[52:53], s[4:5], v[42:43]
	v_add_f64 v[42:43], v[154:155], v[160:161]
	v_add_f64 v[52:53], v[156:157], -v[154:155]
	v_add_f64 v[40:41], v[40:41], v[160:161]
	v_fma_f64 v[36:37], v[42:43], -0.5, v[36:37]
	v_add_f64 v[54:55], v[52:53], v[54:55]
	v_fma_f64 v[42:43], v[50:51], s[14:15], v[36:37]
	v_fma_f64 v[36:37], v[50:51], s[2:3], v[36:37]
	;; [unrolled: 1-line block ×4, first 2 shown]
	v_add_f64 v[46:47], v[132:133], v[134:135]
	v_fma_f64 v[52:53], v[54:55], s[4:5], v[42:43]
	v_fma_f64 v[36:37], v[54:55], s[4:5], v[36:37]
	v_fma_f64 v[46:47], v[46:47], -0.5, v[38:39]
	v_add_f64 v[54:55], v[130:131], -v[132:133]
	v_add_f64 v[42:43], v[38:39], v[130:131]
	v_fma_f64 v[50:51], v[56:57], s[14:15], v[46:47]
	v_fma_f64 v[46:47], v[56:57], s[2:3], v[46:47]
	v_add_f64 v[54:55], v[54:55], v[60:61]
	v_add_f64 v[60:61], v[132:133], -v[130:131]
	v_add_f64 v[42:43], v[42:43], v[132:133]
	v_add_f64 v[132:133], v[72:73], -v[76:77]
	v_fma_f64 v[50:51], v[58:59], s[6:7], v[50:51]
	v_fma_f64 v[46:47], v[58:59], s[8:9], v[46:47]
	v_add_f64 v[60:61], v[60:61], v[62:63]
	v_add_f64 v[62:63], v[84:85], -v[72:73]
	v_add_f64 v[42:43], v[42:43], v[134:135]
	v_add_f64 v[134:135], v[96:97], -v[100:101]
	v_fma_f64 v[50:51], v[54:55], s[4:5], v[50:51]
	v_fma_f64 v[46:47], v[54:55], s[4:5], v[46:47]
	v_add_f64 v[54:55], v[130:131], v[136:137]
	v_add_f64 v[130:131], v[140:141], -v[142:143]
	v_add_f64 v[42:43], v[42:43], v[136:137]
	v_fma_f64 v[38:39], v[54:55], -0.5, v[38:39]
	v_fma_f64 v[54:55], v[58:59], s[2:3], v[38:39]
	v_fma_f64 v[38:39], v[58:59], s[14:15], v[38:39]
	v_add_f64 v[58:59], v[140:141], v[142:143]
	v_fma_f64 v[54:55], v[56:57], s[6:7], v[54:55]
	v_fma_f64 v[38:39], v[56:57], s[8:9], v[38:39]
	v_fma_f64 v[58:59], v[58:59], -0.5, v[12:13]
	v_add_f64 v[56:57], v[12:13], v[138:139]
	v_fma_f64 v[54:55], v[60:61], s[4:5], v[54:55]
	v_fma_f64 v[38:39], v[60:61], s[4:5], v[38:39]
	;; [unrolled: 1-line block ×4, first 2 shown]
	v_add_f64 v[56:57], v[56:57], v[140:141]
	v_fma_f64 v[60:61], v[66:67], s[8:9], v[60:61]
	v_fma_f64 v[58:59], v[66:67], s[6:7], v[58:59]
	v_add_f64 v[56:57], v[56:57], v[142:143]
	v_fma_f64 v[64:65], v[68:69], s[4:5], v[60:61]
	v_fma_f64 v[60:61], v[68:69], s[4:5], v[58:59]
	v_add_f64 v[58:59], v[138:139], v[144:145]
	v_add_f64 v[68:69], v[140:141], -v[138:139]
	v_add_f64 v[56:57], v[56:57], v[144:145]
	v_fma_f64 v[12:13], v[58:59], -0.5, v[12:13]
	v_add_f64 v[70:71], v[68:69], v[70:71]
	v_fma_f64 v[58:59], v[66:67], s[14:15], v[12:13]
	v_fma_f64 v[12:13], v[66:67], s[2:3], v[12:13]
	;; [unrolled: 1-line block ×4, first 2 shown]
	v_add_f64 v[62:63], v[80:81], v[76:77]
	v_fma_f64 v[68:69], v[70:71], s[4:5], v[58:59]
	v_fma_f64 v[12:13], v[70:71], s[4:5], v[12:13]
	v_fma_f64 v[62:63], v[62:63], -0.5, v[14:15]
	v_add_f64 v[70:71], v[84:85], -v[80:81]
	v_add_f64 v[58:59], v[14:15], v[84:85]
	v_fma_f64 v[66:67], v[74:75], s[14:15], v[62:63]
	v_fma_f64 v[62:63], v[74:75], s[2:3], v[62:63]
	v_add_f64 v[70:71], v[70:71], v[132:133]
	v_add_f64 v[58:59], v[58:59], v[80:81]
	v_add_f64 v[80:81], v[80:81], -v[84:85]
	v_add_f64 v[132:133], v[88:89], -v[90:91]
	v_fma_f64 v[66:67], v[130:131], s[6:7], v[66:67]
	v_fma_f64 v[62:63], v[130:131], s[8:9], v[62:63]
	v_add_f64 v[58:59], v[58:59], v[76:77]
	v_fma_f64 v[66:67], v[70:71], s[4:5], v[66:67]
	v_fma_f64 v[62:63], v[70:71], s[4:5], v[62:63]
	v_add_f64 v[70:71], v[84:85], v[72:73]
	v_add_f64 v[58:59], v[58:59], v[72:73]
	v_add_f64 v[72:73], v[76:77], -v[72:73]
	v_add_f64 v[84:85], v[100:101], -v[96:97]
	v_fma_f64 v[14:15], v[70:71], -0.5, v[14:15]
	v_add_f64 v[72:73], v[80:81], v[72:73]
	v_add_f64 v[80:81], v[78:79], -v[82:83]
	v_fma_f64 v[70:71], v[130:131], s[2:3], v[14:15]
	v_fma_f64 v[14:15], v[130:131], s[14:15], v[14:15]
	v_add_f64 v[130:131], v[86:87], -v[92:93]
	v_add_f64 v[84:85], v[80:81], v[84:85]
	v_fma_f64 v[70:71], v[74:75], s[6:7], v[70:71]
	v_fma_f64 v[14:15], v[74:75], s[8:9], v[14:15]
	v_add_f64 v[74:75], v[82:83], v[96:97]
	v_fma_f64 v[70:71], v[72:73], s[4:5], v[70:71]
	v_fma_f64 v[14:15], v[72:73], s[4:5], v[14:15]
	v_fma_f64 v[74:75], v[74:75], -0.5, v[8:9]
	v_add_f64 v[72:73], v[8:9], v[78:79]
	v_fma_f64 v[76:77], v[130:131], s[2:3], v[74:75]
	v_fma_f64 v[74:75], v[130:131], s[14:15], v[74:75]
	v_add_f64 v[72:73], v[72:73], v[82:83]
	v_fma_f64 v[76:77], v[132:133], s[8:9], v[76:77]
	v_fma_f64 v[74:75], v[132:133], s[6:7], v[74:75]
	v_add_f64 v[72:73], v[72:73], v[96:97]
	v_add_f64 v[96:97], v[82:83], -v[96:97]
	v_fma_f64 v[80:81], v[84:85], s[4:5], v[76:77]
	v_fma_f64 v[76:77], v[84:85], s[4:5], v[74:75]
	v_add_f64 v[74:75], v[78:79], v[100:101]
	v_add_f64 v[72:73], v[72:73], v[100:101]
	v_add_f64 v[100:101], v[78:79], -v[100:101]
	v_add_f64 v[84:85], v[82:83], -v[78:79]
	v_add_f64 v[82:83], v[86:87], -v[88:89]
	v_fma_f64 v[8:9], v[74:75], -0.5, v[8:9]
	v_add_f64 v[134:135], v[84:85], v[134:135]
	v_fma_f64 v[74:75], v[132:133], s[14:15], v[8:9]
	v_fma_f64 v[8:9], v[132:133], s[2:3], v[8:9]
	v_add_f64 v[132:133], v[92:93], -v[90:91]
	v_fma_f64 v[74:75], v[130:131], s[8:9], v[74:75]
	v_fma_f64 v[8:9], v[130:131], s[6:7], v[8:9]
	v_add_f64 v[130:131], v[88:89], v[90:91]
	v_add_f64 v[132:133], v[82:83], v[132:133]
	v_fma_f64 v[84:85], v[134:135], s[4:5], v[74:75]
	v_add_f64 v[74:75], v[10:11], v[86:87]
	v_fma_f64 v[130:131], v[130:131], -0.5, v[10:11]
	v_fma_f64 v[8:9], v[134:135], s[4:5], v[8:9]
	v_add_f64 v[134:135], v[126:127], -v[128:129]
	v_add_f64 v[74:75], v[74:75], v[88:89]
	v_fma_f64 v[78:79], v[100:101], s[14:15], v[130:131]
	v_add_f64 v[74:75], v[74:75], v[90:91]
	v_fma_f64 v[78:79], v[96:97], s[6:7], v[78:79]
	;; [unrolled: 2-line block ×3, first 2 shown]
	v_fma_f64 v[78:79], v[100:101], s[2:3], v[130:131]
	v_add_f64 v[130:131], v[86:87], v[92:93]
	v_add_f64 v[86:87], v[88:89], -v[86:87]
	v_add_f64 v[88:89], v[90:91], -v[92:93]
	v_add_f64 v[90:91], v[98:99], v[126:127]
	v_fma_f64 v[78:79], v[96:97], s[8:9], v[78:79]
	v_fma_f64 v[10:11], v[130:131], -0.5, v[10:11]
	v_add_f64 v[88:89], v[86:87], v[88:89]
	v_fma_f64 v[90:91], v[90:91], -0.5, v[4:5]
	v_fma_f64 v[78:79], v[132:133], s[4:5], v[78:79]
	v_fma_f64 v[130:131], v[96:97], s[2:3], v[10:11]
	v_fma_f64 v[10:11], v[96:97], s[14:15], v[10:11]
	v_add_f64 v[132:133], v[120:121], -v[122:123]
	v_add_f64 v[96:97], v[94:95], -v[98:99]
	v_fma_f64 v[130:131], v[100:101], s[6:7], v[130:131]
	v_fma_f64 v[10:11], v[100:101], s[8:9], v[10:11]
	v_add_f64 v[100:101], v[128:129], -v[126:127]
	v_fma_f64 v[86:87], v[88:89], s[4:5], v[130:131]
	v_add_f64 v[130:131], v[102:103], -v[124:125]
	v_add_f64 v[100:101], v[96:97], v[100:101]
	v_fma_f64 v[10:11], v[88:89], s[4:5], v[10:11]
	v_add_f64 v[88:89], v[4:5], v[94:95]
	v_fma_f64 v[92:93], v[130:131], s[2:3], v[90:91]
	v_fma_f64 v[90:91], v[130:131], s[14:15], v[90:91]
	v_add_f64 v[88:89], v[88:89], v[98:99]
	v_fma_f64 v[92:93], v[132:133], s[8:9], v[92:93]
	v_fma_f64 v[90:91], v[132:133], s[6:7], v[90:91]
	v_add_f64 v[88:89], v[88:89], v[126:127]
	v_add_f64 v[126:127], v[98:99], -v[126:127]
	v_fma_f64 v[96:97], v[100:101], s[4:5], v[92:93]
	v_fma_f64 v[92:93], v[100:101], s[4:5], v[90:91]
	v_add_f64 v[90:91], v[94:95], v[128:129]
	v_add_f64 v[88:89], v[88:89], v[128:129]
	v_add_f64 v[128:129], v[94:95], -v[128:129]
	v_add_f64 v[100:101], v[98:99], -v[94:95]
	;; [unrolled: 1-line block ×3, first 2 shown]
	v_fma_f64 v[4:5], v[90:91], -0.5, v[4:5]
	v_add_f64 v[134:135], v[100:101], v[134:135]
	v_fma_f64 v[90:91], v[132:133], s[14:15], v[4:5]
	v_fma_f64 v[4:5], v[132:133], s[2:3], v[4:5]
	v_add_f64 v[132:133], v[124:125], -v[122:123]
	v_fma_f64 v[90:91], v[130:131], s[8:9], v[90:91]
	v_fma_f64 v[4:5], v[130:131], s[6:7], v[4:5]
	v_add_f64 v[130:131], v[120:121], v[122:123]
	v_add_f64 v[132:133], v[98:99], v[132:133]
	v_fma_f64 v[100:101], v[134:135], s[4:5], v[90:91]
	v_add_f64 v[90:91], v[6:7], v[102:103]
	v_fma_f64 v[130:131], v[130:131], -0.5, v[6:7]
	v_fma_f64 v[4:5], v[134:135], s[4:5], v[4:5]
	v_add_f64 v[134:135], v[116:117], -v[118:119]
	v_add_f64 v[90:91], v[90:91], v[120:121]
	v_fma_f64 v[94:95], v[128:129], s[14:15], v[130:131]
	v_add_f64 v[90:91], v[90:91], v[122:123]
	v_fma_f64 v[94:95], v[126:127], s[6:7], v[94:95]
	;; [unrolled: 2-line block ×3, first 2 shown]
	v_fma_f64 v[94:95], v[128:129], s[2:3], v[130:131]
	v_add_f64 v[130:131], v[102:103], v[124:125]
	v_add_f64 v[102:103], v[120:121], -v[102:103]
	v_add_f64 v[120:121], v[122:123], -v[124:125]
	v_add_f64 v[122:123], v[114:115], v[116:117]
	v_fma_f64 v[94:95], v[126:127], s[8:9], v[94:95]
	v_fma_f64 v[6:7], v[130:131], -0.5, v[6:7]
	v_add_f64 v[120:121], v[102:103], v[120:121]
	v_fma_f64 v[122:123], v[122:123], -0.5, v[0:1]
	v_fma_f64 v[94:95], v[132:133], s[4:5], v[94:95]
	v_fma_f64 v[130:131], v[126:127], s[2:3], v[6:7]
	;; [unrolled: 1-line block ×3, first 2 shown]
	v_add_f64 v[126:127], v[104:105], -v[110:111]
	v_add_f64 v[132:133], v[118:119], -v[116:117]
	v_fma_f64 v[130:131], v[128:129], s[6:7], v[130:131]
	v_fma_f64 v[6:7], v[128:129], s[8:9], v[6:7]
	;; [unrolled: 1-line block ×3, first 2 shown]
	v_add_f64 v[128:129], v[112:113], -v[114:115]
	v_fma_f64 v[122:123], v[126:127], s[14:15], v[122:123]
	v_fma_f64 v[102:103], v[120:121], s[4:5], v[130:131]
	v_add_f64 v[130:131], v[172:173], -v[108:109]
	v_fma_f64 v[6:7], v[120:121], s[4:5], v[6:7]
	v_add_f64 v[128:129], v[128:129], v[132:133]
	v_add_f64 v[120:121], v[0:1], v[112:113]
	v_add_f64 v[132:133], v[114:115], -v[112:113]
	v_fma_f64 v[124:125], v[130:131], s[8:9], v[124:125]
	v_fma_f64 v[122:123], v[130:131], s[6:7], v[122:123]
	v_add_f64 v[120:121], v[120:121], v[114:115]
	v_add_f64 v[114:115], v[114:115], -v[116:117]
	v_add_f64 v[132:133], v[132:133], v[134:135]
	v_fma_f64 v[124:125], v[128:129], s[4:5], v[124:125]
	v_fma_f64 v[128:129], v[128:129], s[4:5], v[122:123]
	v_add_f64 v[122:123], v[112:113], v[118:119]
	v_add_f64 v[120:121], v[120:121], v[116:117]
	v_add_f64 v[112:113], v[112:113], -v[118:119]
	v_fma_f64 v[122:123], v[122:123], -0.5, v[0:1]
	v_add_f64 v[120:121], v[120:121], v[118:119]
	v_fma_f64 v[0:1], v[130:131], s[14:15], v[122:123]
	v_fma_f64 v[122:123], v[130:131], s[2:3], v[122:123]
	;; [unrolled: 1-line block ×4, first 2 shown]
	v_add_f64 v[126:127], v[172:173], v[108:109]
	v_fma_f64 v[0:1], v[132:133], s[4:5], v[0:1]
	v_fma_f64 v[132:133], v[132:133], s[4:5], v[122:123]
	v_fma_f64 v[130:131], v[126:127], -0.5, v[2:3]
	v_add_f64 v[126:127], v[110:111], -v[108:109]
	v_add_f64 v[122:123], v[2:3], v[104:105]
	v_fma_f64 v[118:119], v[112:113], s[14:15], v[130:131]
	v_add_f64 v[122:123], v[122:123], v[172:173]
	v_fma_f64 v[116:117], v[114:115], s[6:7], v[118:119]
	v_add_f64 v[118:119], v[104:105], -v[172:173]
	v_add_f64 v[122:123], v[122:123], v[108:109]
	v_add_f64 v[108:109], v[108:109], -v[110:111]
	v_add_f64 v[118:119], v[118:119], v[126:127]
	v_add_f64 v[122:123], v[122:123], v[110:111]
	v_fma_f64 v[126:127], v[118:119], s[4:5], v[116:117]
	v_fma_f64 v[116:117], v[112:113], s[2:3], v[130:131]
	;; [unrolled: 1-line block ×4, first 2 shown]
	v_add_f64 v[116:117], v[104:105], v[110:111]
	v_add_f64 v[104:105], v[172:173], -v[104:105]
	v_fma_f64 v[116:117], v[116:117], -0.5, v[2:3]
	v_add_f64 v[104:105], v[104:105], v[108:109]
	v_fma_f64 v[2:3], v[114:115], s[2:3], v[116:117]
	v_fma_f64 v[108:109], v[114:115], s[14:15], v[116:117]
	;; [unrolled: 1-line block ×6, first 2 shown]
	v_mul_u32_u24_e32 v104, 15, v174
	v_add_lshl_u32 v168, v104, v175, 4
	ds_write_b128 v168, v[16:19]
	ds_write_b128 v168, v[24:27] offset:48
	ds_write_b128 v168, v[32:35] offset:96
	;; [unrolled: 1-line block ×4, first 2 shown]
	v_mul_u32_u24_e32 v16, 15, v184
	v_add_lshl_u32 v16, v16, v185, 4
	buffer_store_dword v16, off, s[28:31], 0 offset:1652 ; 4-byte Folded Spill
	ds_write_b128 v16, v[40:43]
	ds_write_b128 v16, v[48:51] offset:48
	ds_write_b128 v16, v[52:55] offset:96
	;; [unrolled: 1-line block ×4, first 2 shown]
	v_mad_legacy_u16 v16, v186, 15, v187
	v_lshlrev_b32_e32 v16, 4, v16
	buffer_store_dword v16, off, s[28:31], 0 offset:1468 ; 4-byte Folded Spill
	ds_write_b128 v16, v[56:59]
	ds_write_b128 v16, v[64:67] offset:48
	ds_write_b128 v16, v[68:71] offset:96
	;; [unrolled: 1-line block ×4, first 2 shown]
	v_mad_legacy_u16 v12, v188, 15, v189
	v_mul_lo_u16_sdwa v36, v194, s20 dst_sel:DWORD dst_unused:UNUSED_PAD src0_sel:BYTE_0 src1_sel:DWORD
	v_lshlrev_b32_e32 v12, 4, v12
	v_lshrrev_b16_e32 v164, 11, v36
	buffer_store_dword v12, off, s[28:31], 0 offset:1268 ; 4-byte Folded Spill
	ds_write_b128 v12, v[72:75]
	ds_write_b128 v12, v[80:83] offset:48
	ds_write_b128 v12, v[84:87] offset:96
	;; [unrolled: 1-line block ×4, first 2 shown]
	v_mad_legacy_u16 v8, v190, 15, v191
	v_mul_lo_u16_e32 v36, 15, v164
	v_lshlrev_b32_e32 v8, 4, v8
	v_sub_u16_e32 v36, v194, v36
	buffer_store_dword v8, off, s[28:31], 0 offset:924 ; 4-byte Folded Spill
	ds_write_b128 v8, v[88:91]
	ds_write_b128 v8, v[96:99] offset:48
	ds_write_b128 v8, v[100:103] offset:96
	;; [unrolled: 1-line block ×4, first 2 shown]
	v_mad_legacy_u16 v4, v192, 15, v193
	v_and_b32_e32 v165, 0xff, v36
	v_lshlrev_b32_e32 v4, 4, v4
	v_lshlrev_b32_e32 v36, 6, v165
	buffer_store_dword v4, off, s[28:31], 0 offset:660 ; 4-byte Folded Spill
	ds_write_b128 v4, v[120:123]
	ds_write_b128 v4, v[124:127] offset:48
	ds_write_b128 v4, v[0:3] offset:96
	ds_write_b128 v4, v[132:135] offset:144
	ds_write_b128 v4, v[128:131] offset:192
	s_waitcnt vmcnt(0) lgkmcnt(0)
	s_barrier
	ds_read_b128 v[28:31], v106
	ds_read_b128 v[90:93], v106 offset:12000
	ds_read_b128 v[94:97], v106 offset:24000
	;; [unrolled: 1-line block ×29, first 2 shown]
	global_load_dwordx4 v[124:127], v36, s[10:11] offset:240
	global_load_dwordx4 v[128:131], v36, s[10:11] offset:224
	;; [unrolled: 1-line block ×4, first 2 shown]
	s_waitcnt vmcnt(0)
	buffer_store_dword v136, off, s[28:31], 0 offset:668 ; 4-byte Folded Spill
	s_nop 0
	buffer_store_dword v137, off, s[28:31], 0 offset:672 ; 4-byte Folded Spill
	buffer_store_dword v138, off, s[28:31], 0 offset:676 ; 4-byte Folded Spill
	buffer_store_dword v139, off, s[28:31], 0 offset:680 ; 4-byte Folded Spill
	buffer_store_dword v132, off, s[28:31], 0 offset:684 ; 4-byte Folded Spill
	s_nop 0
	buffer_store_dword v133, off, s[28:31], 0 offset:688 ; 4-byte Folded Spill
	buffer_store_dword v134, off, s[28:31], 0 offset:692 ; 4-byte Folded Spill
	buffer_store_dword v135, off, s[28:31], 0 offset:696 ; 4-byte Folded Spill
	;; [unrolled: 5-line block ×4, first 2 shown]
	s_waitcnt lgkmcnt(14)
	v_mul_f64 v[36:37], v[92:93], v[138:139]
	v_fma_f64 v[204:205], v[90:91], v[136:137], -v[36:37]
	v_mul_f64 v[36:37], v[90:91], v[138:139]
	v_mul_f64 v[90:91], v[96:97], v[134:135]
	v_fma_f64 v[36:37], v[92:93], v[136:137], v[36:37]
	v_fma_f64 v[206:207], v[94:95], v[132:133], -v[90:91]
	v_mul_f64 v[90:91], v[94:95], v[134:135]
	v_fma_f64 v[154:155], v[96:97], v[132:133], v[90:91]
	v_mul_f64 v[90:91], v[100:101], v[130:131]
	v_fma_f64 v[208:209], v[98:99], v[128:129], -v[90:91]
	v_mul_f64 v[90:91], v[98:99], v[130:131]
	v_fma_f64 v[156:157], v[100:101], v[128:129], v[90:91]
	v_mul_f64 v[90:91], v[104:105], v[126:127]
	v_fma_f64 v[210:211], v[102:103], v[124:125], -v[90:91]
	v_mul_f64 v[90:91], v[102:103], v[126:127]
	v_fma_f64 v[160:161], v[104:105], v[124:125], v[90:91]
	v_mul_lo_u16_sdwa v90, v107, s20 dst_sel:DWORD dst_unused:UNUSED_PAD src0_sel:BYTE_0 src1_sel:DWORD
	v_lshrrev_b16_e32 v166, 11, v90
	v_mul_lo_u16_e32 v90, 15, v166
	v_sub_u16_e32 v90, v107, v90
	v_and_b32_e32 v167, 0xff, v90
	v_lshlrev_b32_e32 v90, 6, v167
	global_load_dwordx4 v[92:95], v90, s[10:11] offset:240
	s_waitcnt vmcnt(0)
	buffer_store_dword v92, off, s[28:31], 0 offset:892 ; 4-byte Folded Spill
	s_nop 0
	buffer_store_dword v93, off, s[28:31], 0 offset:896 ; 4-byte Folded Spill
	buffer_store_dword v94, off, s[28:31], 0 offset:900 ; 4-byte Folded Spill
	;; [unrolled: 1-line block ×3, first 2 shown]
	global_load_dwordx4 v[96:99], v90, s[10:11] offset:224
	global_load_dwordx4 v[100:103], v90, s[10:11] offset:208
	;; [unrolled: 1-line block ×3, first 2 shown]
	s_waitcnt vmcnt(0)
	buffer_store_dword v124, off, s[28:31], 0 offset:796 ; 4-byte Folded Spill
	s_nop 0
	buffer_store_dword v125, off, s[28:31], 0 offset:800 ; 4-byte Folded Spill
	buffer_store_dword v126, off, s[28:31], 0 offset:804 ; 4-byte Folded Spill
	buffer_store_dword v127, off, s[28:31], 0 offset:808 ; 4-byte Folded Spill
	buffer_store_dword v100, off, s[28:31], 0 offset:828 ; 4-byte Folded Spill
	s_nop 0
	buffer_store_dword v101, off, s[28:31], 0 offset:832 ; 4-byte Folded Spill
	buffer_store_dword v102, off, s[28:31], 0 offset:836 ; 4-byte Folded Spill
	buffer_store_dword v103, off, s[28:31], 0 offset:840 ; 4-byte Folded Spill
	;; [unrolled: 5-line block ×3, first 2 shown]
	s_mov_b32 s20, 0x8889
	v_mul_f64 v[90:91], v[110:111], v[126:127]
	v_fma_f64 v[148:149], v[108:109], v[124:125], -v[90:91]
	v_mul_f64 v[90:91], v[108:109], v[126:127]
	v_fma_f64 v[134:135], v[110:111], v[124:125], v[90:91]
	v_mul_f64 v[90:91], v[114:115], v[102:103]
	v_fma_f64 v[150:151], v[112:113], v[100:101], -v[90:91]
	v_mul_f64 v[90:91], v[112:113], v[102:103]
	v_fma_f64 v[140:141], v[114:115], v[100:101], v[90:91]
	;; [unrolled: 4-line block ×4, first 2 shown]
	v_mul_u32_u24_sdwa v90, v180, s20 dst_sel:DWORD dst_unused:UNUSED_PAD src0_sel:WORD_0 src1_sel:DWORD
	v_lshrrev_b32_e32 v172, 19, v90
	v_mul_lo_u16_e32 v90, 15, v172
	v_sub_u16_e32 v173, v180, v90
	v_lshlrev_b16_e32 v90, 6, v173
	v_add_co_u32_e32 v90, vcc, s10, v90
	v_addc_co_u32_e32 v91, vcc, 0, v216, vcc
	global_load_dwordx4 v[92:95], v[90:91], off offset:240
	global_load_dwordx4 v[96:99], v[90:91], off offset:224
	;; [unrolled: 1-line block ×4, first 2 shown]
	s_waitcnt vmcnt(0)
	v_mul_f64 v[90:91], v[88:89], v[110:111]
	v_fma_f64 v[132:133], v[86:87], v[108:109], -v[90:91]
	buffer_store_dword v108, off, s[28:31], 0 offset:1076 ; 4-byte Folded Spill
	s_nop 0
	buffer_store_dword v109, off, s[28:31], 0 offset:1080 ; 4-byte Folded Spill
	buffer_store_dword v110, off, s[28:31], 0 offset:1084 ; 4-byte Folded Spill
	buffer_store_dword v111, off, s[28:31], 0 offset:1088 ; 4-byte Folded Spill
	buffer_store_dword v100, off, s[28:31], 0 offset:1092 ; 4-byte Folded Spill
	s_nop 0
	buffer_store_dword v101, off, s[28:31], 0 offset:1096 ; 4-byte Folded Spill
	buffer_store_dword v102, off, s[28:31], 0 offset:1100 ; 4-byte Folded Spill
	buffer_store_dword v103, off, s[28:31], 0 offset:1104 ; 4-byte Folded Spill
	;; [unrolled: 5-line block ×4, first 2 shown]
	v_mul_f64 v[86:87], v[86:87], v[110:111]
	v_fma_f64 v[86:87], v[88:89], v[108:109], v[86:87]
	v_mul_f64 v[88:89], v[84:85], v[102:103]
	v_fma_f64 v[136:137], v[82:83], v[100:101], -v[88:89]
	v_mul_f64 v[82:83], v[82:83], v[102:103]
	v_fma_f64 v[82:83], v[84:85], v[100:101], v[82:83]
	v_mul_f64 v[84:85], v[80:81], v[98:99]
	v_fma_f64 v[138:139], v[78:79], v[96:97], -v[84:85]
	;; [unrolled: 4-line block ×3, first 2 shown]
	v_mul_f64 v[74:75], v[74:75], v[94:95]
	v_fma_f64 v[74:75], v[76:77], v[92:93], v[74:75]
	v_mul_u32_u24_sdwa v76, v181, s20 dst_sel:DWORD dst_unused:UNUSED_PAD src0_sel:WORD_0 src1_sel:DWORD
	v_lshrrev_b32_e32 v174, 19, v76
	v_mul_lo_u16_e32 v76, 15, v174
	v_sub_u16_e32 v175, v181, v76
	v_lshlrev_b16_e32 v76, 6, v175
	v_add_co_u32_e32 v76, vcc, s10, v76
	v_addc_co_u32_e32 v77, vcc, 0, v216, vcc
	global_load_dwordx4 v[94:97], v[76:77], off offset:240
	global_load_dwordx4 v[98:101], v[76:77], off offset:224
	;; [unrolled: 1-line block ×4, first 2 shown]
	s_waitcnt vmcnt(0) lgkmcnt(13)
	v_mul_f64 v[76:77], v[72:73], v[104:105]
	v_fma_f64 v[80:81], v[70:71], v[102:103], -v[76:77]
	buffer_store_dword v102, off, s[28:31], 0 offset:1188 ; 4-byte Folded Spill
	s_nop 0
	buffer_store_dword v103, off, s[28:31], 0 offset:1192 ; 4-byte Folded Spill
	buffer_store_dword v104, off, s[28:31], 0 offset:1196 ; 4-byte Folded Spill
	buffer_store_dword v105, off, s[28:31], 0 offset:1200 ; 4-byte Folded Spill
	buffer_store_dword v90, off, s[28:31], 0 offset:1204 ; 4-byte Folded Spill
	s_nop 0
	buffer_store_dword v91, off, s[28:31], 0 offset:1208 ; 4-byte Folded Spill
	buffer_store_dword v92, off, s[28:31], 0 offset:1212 ; 4-byte Folded Spill
	;; [unrolled: 1-line block ×3, first 2 shown]
	v_add_f64 v[76:77], v[132:133], -v[144:145]
	v_mul_f64 v[70:71], v[70:71], v[104:105]
	v_fma_f64 v[88:89], v[72:73], v[102:103], v[70:71]
	s_waitcnt lgkmcnt(12)
	v_mul_f64 v[70:71], v[68:69], v[92:93]
	v_add_f64 v[72:73], v[74:75], -v[78:79]
	v_fma_f64 v[84:85], v[66:67], v[90:91], -v[70:71]
	v_mul_f64 v[66:67], v[66:67], v[92:93]
	v_fma_f64 v[90:91], v[68:69], v[90:91], v[66:67]
	v_mov_b32_e32 v68, v98
	v_mov_b32_e32 v69, v99
	;; [unrolled: 1-line block ×4, first 2 shown]
	buffer_store_dword v68, off, s[28:31], 0 offset:1220 ; 4-byte Folded Spill
	s_nop 0
	buffer_store_dword v69, off, s[28:31], 0 offset:1224 ; 4-byte Folded Spill
	buffer_store_dword v70, off, s[28:31], 0 offset:1228 ; 4-byte Folded Spill
	buffer_store_dword v71, off, s[28:31], 0 offset:1232 ; 4-byte Folded Spill
	buffer_store_dword v94, off, s[28:31], 0 offset:1236 ; 4-byte Folded Spill
	s_nop 0
	buffer_store_dword v95, off, s[28:31], 0 offset:1240 ; 4-byte Folded Spill
	buffer_store_dword v96, off, s[28:31], 0 offset:1244 ; 4-byte Folded Spill
	;; [unrolled: 1-line block ×3, first 2 shown]
	s_waitcnt lgkmcnt(11)
	v_mul_f64 v[66:67], v[64:65], v[70:71]
	v_fma_f64 v[98:99], v[62:63], v[68:69], -v[66:67]
	v_mul_f64 v[62:63], v[62:63], v[70:71]
	v_fma_f64 v[92:93], v[64:65], v[68:69], v[62:63]
	s_waitcnt lgkmcnt(10)
	v_mul_f64 v[62:63], v[60:61], v[96:97]
	v_fma_f64 v[102:103], v[58:59], v[94:95], -v[62:63]
	v_mul_f64 v[58:59], v[58:59], v[96:97]
	v_fma_f64 v[94:95], v[60:61], v[94:95], v[58:59]
	v_mul_u32_u24_sdwa v58, v182, s20 dst_sel:DWORD dst_unused:UNUSED_PAD src0_sel:WORD_0 src1_sel:DWORD
	v_lshrrev_b32_e32 v196, 19, v58
	v_mul_lo_u16_e32 v58, 15, v196
	v_sub_u16_e32 v197, v182, v58
	v_lshlrev_b16_e32 v58, 6, v197
	v_add_co_u32_e32 v58, vcc, s10, v58
	v_addc_co_u32_e32 v59, vcc, 0, v216, vcc
	global_load_dwordx4 v[60:63], v[58:59], off offset:240
	global_load_dwordx4 v[64:67], v[58:59], off offset:224
	;; [unrolled: 1-line block ×4, first 2 shown]
	s_waitcnt vmcnt(0) lgkmcnt(8)
	v_mul_f64 v[58:59], v[56:57], v[110:111]
	v_fma_f64 v[96:97], v[54:55], v[108:109], -v[58:59]
	buffer_store_dword v108, off, s[28:31], 0 offset:1324 ; 4-byte Folded Spill
	s_nop 0
	buffer_store_dword v109, off, s[28:31], 0 offset:1328 ; 4-byte Folded Spill
	buffer_store_dword v110, off, s[28:31], 0 offset:1332 ; 4-byte Folded Spill
	buffer_store_dword v111, off, s[28:31], 0 offset:1336 ; 4-byte Folded Spill
	buffer_store_dword v68, off, s[28:31], 0 offset:1340 ; 4-byte Folded Spill
	s_nop 0
	buffer_store_dword v69, off, s[28:31], 0 offset:1344 ; 4-byte Folded Spill
	buffer_store_dword v70, off, s[28:31], 0 offset:1348 ; 4-byte Folded Spill
	buffer_store_dword v71, off, s[28:31], 0 offset:1352 ; 4-byte Folded Spill
	;; [unrolled: 5-line block ×4, first 2 shown]
	v_add_f64 v[58:59], v[150:151], -v[152:153]
	v_mul_f64 v[54:55], v[54:55], v[110:111]
	v_fma_f64 v[104:105], v[56:57], v[108:109], v[54:55]
	s_waitcnt lgkmcnt(7)
	v_mul_f64 v[54:55], v[52:53], v[70:71]
	v_add_f64 v[56:57], v[134:135], -v[140:141]
	v_fma_f64 v[100:101], v[50:51], v[68:69], -v[54:55]
	v_mul_f64 v[50:51], v[50:51], v[70:71]
	v_add_f64 v[54:55], v[152:153], -v[158:159]
	v_add_f64 v[70:71], v[138:139], -v[144:145]
	v_fma_f64 v[120:121], v[52:53], v[68:69], v[50:51]
	s_waitcnt lgkmcnt(6)
	v_mul_f64 v[50:51], v[48:49], v[66:67]
	v_add_f64 v[52:53], v[158:159], -v[152:153]
	v_add_f64 v[68:69], v[144:145], -v[138:139]
	v_fma_f64 v[128:129], v[46:47], v[64:65], -v[50:51]
	v_mul_f64 v[46:47], v[46:47], v[66:67]
	v_add_f64 v[50:51], v[148:149], -v[150:151]
	v_add_f64 v[66:67], v[132:133], -v[136:137]
	v_fma_f64 v[124:125], v[48:49], v[64:65], v[46:47]
	s_waitcnt lgkmcnt(5)
	v_mul_f64 v[46:47], v[44:45], v[62:63]
	v_add_f64 v[48:49], v[140:141], -v[142:143]
	v_add_f64 v[50:51], v[50:51], v[52:53]
	v_add_f64 v[52:53], v[150:151], -v[148:149]
	v_add_f64 v[64:65], v[82:83], -v[78:79]
	v_add_f64 v[68:69], v[66:67], v[68:69]
	v_fma_f64 v[130:131], v[42:43], v[60:61], -v[46:47]
	v_mul_f64 v[42:43], v[42:43], v[62:63]
	v_add_f64 v[46:47], v[160:161], -v[156:157]
	v_add_f64 v[52:53], v[52:53], v[54:55]
	v_add_f64 v[62:63], v[142:143], -v[146:147]
	v_fma_f64 v[126:127], v[44:45], v[60:61], v[42:43]
	v_mul_u32_u24_sdwa v42, v183, s20 dst_sel:DWORD dst_unused:UNUSED_PAD src0_sel:WORD_0 src1_sel:DWORD
	v_lshrrev_b32_e32 v198, 19, v42
	v_mul_lo_u16_e32 v42, 15, v198
	v_sub_u16_e32 v199, v183, v42
	v_lshlrev_b16_e32 v42, 6, v199
	v_add_co_u32_e32 v42, vcc, s10, v42
	v_addc_co_u32_e32 v43, vcc, 0, v216, vcc
	global_load_dwordx4 v[200:203], v[42:43], off offset:240
	global_load_dwordx4 v[192:195], v[42:43], off offset:224
	;; [unrolled: 1-line block ×4, first 2 shown]
	v_add_f64 v[44:45], v[206:207], -v[208:209]
	v_add_f64 v[60:61], v[146:147], -v[142:143]
	s_waitcnt vmcnt(0) lgkmcnt(0)
	s_barrier
	s_movk_i32 s20, 0x4b
	v_cmp_gt_u16_e32 vcc, s20, v228
	v_add_f64 v[56:57], v[56:57], v[60:61]
	v_add_f64 v[60:61], v[140:141], -v[134:135]
	v_add_f64 v[60:61], v[60:61], v[62:63]
	v_mul_f64 v[42:43], v[34:35], v[186:187]
	v_fma_f64 v[114:115], v[32:33], v[184:185], -v[42:43]
	v_mul_f64 v[32:33], v[32:33], v[186:187]
	v_add_f64 v[42:43], v[204:205], -v[210:211]
	v_fma_f64 v[162:163], v[34:35], v[184:185], v[32:33]
	v_mul_f64 v[32:33], v[26:27], v[190:191]
	v_add_f64 v[34:35], v[208:209], -v[210:211]
	v_fma_f64 v[116:117], v[24:25], v[188:189], -v[32:33]
	v_mul_f64 v[24:25], v[24:25], v[190:191]
	v_add_f64 v[32:33], v[210:211], -v[208:209]
	v_fma_f64 v[108:109], v[26:27], v[188:189], v[24:25]
	v_mul_f64 v[24:25], v[22:23], v[194:195]
	v_add_f64 v[26:27], v[154:155], -v[156:157]
	;; [unrolled: 6-line block ×3, first 2 shown]
	v_add_f64 v[32:33], v[24:25], v[32:33]
	v_fma_f64 v[122:123], v[16:17], v[200:201], -v[20:21]
	v_mul_f64 v[16:17], v[16:17], v[202:203]
	v_fma_f64 v[112:113], v[18:19], v[200:201], v[16:17]
	v_add_f64 v[18:19], v[206:207], v[208:209]
	v_add_f64 v[16:17], v[28:29], v[204:205]
	v_fma_f64 v[18:19], v[18:19], -0.5, v[28:29]
	v_add_f64 v[16:17], v[16:17], v[206:207]
	v_fma_f64 v[20:21], v[22:23], s[2:3], v[18:19]
	v_fma_f64 v[18:19], v[22:23], s[14:15], v[18:19]
	v_add_f64 v[16:17], v[16:17], v[208:209]
	v_fma_f64 v[20:21], v[26:27], s[8:9], v[20:21]
	v_fma_f64 v[18:19], v[26:27], s[6:7], v[18:19]
	;; [unrolled: 3-line block ×3, first 2 shown]
	v_add_f64 v[18:19], v[204:205], v[210:211]
	v_add_f64 v[32:33], v[206:207], -v[204:205]
	v_fma_f64 v[18:19], v[18:19], -0.5, v[28:29]
	v_add_f64 v[34:35], v[32:33], v[34:35]
	v_fma_f64 v[28:29], v[26:27], s[14:15], v[18:19]
	v_fma_f64 v[18:19], v[26:27], s[2:3], v[18:19]
	;; [unrolled: 1-line block ×4, first 2 shown]
	v_add_f64 v[22:23], v[154:155], v[156:157]
	v_fma_f64 v[32:33], v[34:35], s[4:5], v[28:29]
	v_fma_f64 v[28:29], v[34:35], s[4:5], v[18:19]
	v_fma_f64 v[22:23], v[22:23], -0.5, v[30:31]
	v_add_f64 v[34:35], v[36:37], -v[154:155]
	v_add_f64 v[18:19], v[30:31], v[36:37]
	v_fma_f64 v[26:27], v[42:43], s[14:15], v[22:23]
	v_fma_f64 v[22:23], v[42:43], s[2:3], v[22:23]
	v_add_f64 v[34:35], v[34:35], v[46:47]
	v_add_f64 v[46:47], v[156:157], -v[160:161]
	v_add_f64 v[18:19], v[18:19], v[154:155]
	v_fma_f64 v[26:27], v[44:45], s[6:7], v[26:27]
	v_fma_f64 v[22:23], v[44:45], s[8:9], v[22:23]
	v_add_f64 v[18:19], v[18:19], v[156:157]
	v_fma_f64 v[26:27], v[34:35], s[4:5], v[26:27]
	v_fma_f64 v[22:23], v[34:35], s[4:5], v[22:23]
	v_add_f64 v[34:35], v[36:37], v[160:161]
	v_add_f64 v[36:37], v[154:155], -v[36:37]
	v_add_f64 v[18:19], v[18:19], v[160:161]
	v_fma_f64 v[30:31], v[34:35], -0.5, v[30:31]
	v_add_f64 v[36:37], v[36:37], v[46:47]
	v_fma_f64 v[34:35], v[44:45], s[2:3], v[30:31]
	v_fma_f64 v[30:31], v[44:45], s[14:15], v[30:31]
	v_add_f64 v[44:45], v[134:135], -v[146:147]
	v_fma_f64 v[34:35], v[42:43], s[6:7], v[34:35]
	v_fma_f64 v[30:31], v[42:43], s[8:9], v[30:31]
	v_add_f64 v[42:43], v[150:151], v[152:153]
	v_fma_f64 v[34:35], v[36:37], s[4:5], v[34:35]
	v_fma_f64 v[30:31], v[36:37], s[4:5], v[30:31]
	v_fma_f64 v[42:43], v[42:43], -0.5, v[38:39]
	v_add_f64 v[36:37], v[38:39], v[148:149]
	v_fma_f64 v[46:47], v[44:45], s[2:3], v[42:43]
	v_fma_f64 v[42:43], v[44:45], s[14:15], v[42:43]
	v_add_f64 v[36:37], v[36:37], v[150:151]
	v_fma_f64 v[46:47], v[48:49], s[8:9], v[46:47]
	v_fma_f64 v[42:43], v[48:49], s[6:7], v[42:43]
	;; [unrolled: 3-line block ×3, first 2 shown]
	v_add_f64 v[50:51], v[148:149], v[158:159]
	v_add_f64 v[36:37], v[36:37], v[158:159]
	v_fma_f64 v[38:39], v[50:51], -0.5, v[38:39]
	v_fma_f64 v[50:51], v[48:49], s[14:15], v[38:39]
	v_fma_f64 v[38:39], v[48:49], s[2:3], v[38:39]
	;; [unrolled: 1-line block ×4, first 2 shown]
	v_add_f64 v[44:45], v[140:141], v[142:143]
	v_fma_f64 v[54:55], v[52:53], s[4:5], v[50:51]
	v_fma_f64 v[50:51], v[52:53], s[4:5], v[38:39]
	v_fma_f64 v[44:45], v[44:45], -0.5, v[40:41]
	v_add_f64 v[52:53], v[148:149], -v[158:159]
	v_add_f64 v[38:39], v[40:41], v[134:135]
	v_fma_f64 v[48:49], v[52:53], s[14:15], v[44:45]
	v_fma_f64 v[44:45], v[52:53], s[2:3], v[44:45]
	v_add_f64 v[38:39], v[38:39], v[140:141]
	v_fma_f64 v[48:49], v[58:59], s[6:7], v[48:49]
	v_fma_f64 v[44:45], v[58:59], s[8:9], v[44:45]
	v_add_f64 v[38:39], v[38:39], v[142:143]
	v_fma_f64 v[48:49], v[56:57], s[4:5], v[48:49]
	v_fma_f64 v[44:45], v[56:57], s[4:5], v[44:45]
	v_add_f64 v[56:57], v[134:135], v[146:147]
	v_add_f64 v[134:135], v[98:99], -v[102:103]
	v_add_f64 v[38:39], v[38:39], v[146:147]
	v_fma_f64 v[40:41], v[56:57], -0.5, v[40:41]
	v_fma_f64 v[56:57], v[58:59], s[2:3], v[40:41]
	v_fma_f64 v[40:41], v[58:59], s[14:15], v[40:41]
	;; [unrolled: 1-line block ×6, first 2 shown]
	v_add_f64 v[40:41], v[12:13], v[132:133]
	v_add_f64 v[60:61], v[86:87], -v[74:75]
	v_add_f64 v[40:41], v[40:41], v[136:137]
	v_add_f64 v[40:41], v[40:41], v[138:139]
	;; [unrolled: 1-line block ×4, first 2 shown]
	v_fma_f64 v[40:41], v[40:41], -0.5, v[12:13]
	v_fma_f64 v[62:63], v[60:61], s[2:3], v[40:41]
	v_fma_f64 v[40:41], v[60:61], s[14:15], v[40:41]
	;; [unrolled: 1-line block ×6, first 2 shown]
	v_add_f64 v[40:41], v[132:133], v[144:145]
	v_add_f64 v[68:69], v[136:137], -v[132:133]
	v_add_f64 v[132:133], v[136:137], -v[138:139]
	v_fma_f64 v[12:13], v[40:41], -0.5, v[12:13]
	v_add_f64 v[68:69], v[68:69], v[70:71]
	v_fma_f64 v[40:41], v[64:65], s[14:15], v[12:13]
	v_fma_f64 v[12:13], v[64:65], s[2:3], v[12:13]
	;; [unrolled: 1-line block ×5, first 2 shown]
	v_add_f64 v[40:41], v[14:15], v[86:87]
	v_fma_f64 v[12:13], v[68:69], s[4:5], v[12:13]
	v_add_f64 v[68:69], v[86:87], -v[82:83]
	v_add_f64 v[40:41], v[40:41], v[82:83]
	v_add_f64 v[72:73], v[68:69], v[72:73]
	;; [unrolled: 1-line block ×5, first 2 shown]
	v_fma_f64 v[40:41], v[40:41], -0.5, v[14:15]
	v_fma_f64 v[64:65], v[76:77], s[14:15], v[40:41]
	v_fma_f64 v[40:41], v[76:77], s[2:3], v[40:41]
	;; [unrolled: 1-line block ×6, first 2 shown]
	v_add_f64 v[40:41], v[86:87], v[74:75]
	v_add_f64 v[72:73], v[82:83], -v[86:87]
	v_add_f64 v[74:75], v[78:79], -v[74:75]
	;; [unrolled: 1-line block ×4, first 2 shown]
	v_fma_f64 v[14:15], v[40:41], -0.5, v[14:15]
	v_add_f64 v[74:75], v[72:73], v[74:75]
	v_add_f64 v[86:87], v[82:83], v[86:87]
	v_fma_f64 v[40:41], v[132:133], s[2:3], v[14:15]
	v_fma_f64 v[14:15], v[132:133], s[14:15], v[14:15]
	v_add_f64 v[132:133], v[90:91], -v[92:93]
	v_fma_f64 v[40:41], v[76:77], s[6:7], v[40:41]
	v_fma_f64 v[14:15], v[76:77], s[8:9], v[14:15]
	v_add_f64 v[76:77], v[88:89], -v[94:95]
	v_fma_f64 v[72:73], v[74:75], s[4:5], v[40:41]
	v_add_f64 v[40:41], v[8:9], v[80:81]
	v_fma_f64 v[14:15], v[74:75], s[4:5], v[14:15]
	v_add_f64 v[40:41], v[40:41], v[84:85]
	v_add_f64 v[40:41], v[40:41], v[98:99]
	v_add_f64 v[74:75], v[40:41], v[102:103]
	v_add_f64 v[40:41], v[84:85], v[98:99]
	v_add_f64 v[98:99], v[84:85], -v[98:99]
	v_fma_f64 v[40:41], v[40:41], -0.5, v[8:9]
	v_fma_f64 v[78:79], v[76:77], s[2:3], v[40:41]
	v_fma_f64 v[40:41], v[76:77], s[14:15], v[40:41]
	v_fma_f64 v[78:79], v[132:133], s[8:9], v[78:79]
	v_fma_f64 v[40:41], v[132:133], s[6:7], v[40:41]
	v_fma_f64 v[82:83], v[86:87], s[4:5], v[78:79]
	v_fma_f64 v[78:79], v[86:87], s[4:5], v[40:41]
	v_add_f64 v[40:41], v[80:81], v[102:103]
	v_add_f64 v[86:87], v[84:85], -v[80:81]
	v_add_f64 v[102:103], v[80:81], -v[102:103]
	v_add_f64 v[84:85], v[88:89], -v[90:91]
	v_fma_f64 v[8:9], v[40:41], -0.5, v[8:9]
	v_add_f64 v[134:135], v[86:87], v[134:135]
	v_fma_f64 v[40:41], v[132:133], s[14:15], v[8:9]
	v_fma_f64 v[8:9], v[132:133], s[2:3], v[8:9]
	v_add_f64 v[132:133], v[94:95], -v[92:93]
	v_fma_f64 v[40:41], v[76:77], s[8:9], v[40:41]
	v_fma_f64 v[8:9], v[76:77], s[6:7], v[8:9]
	v_add_f64 v[132:133], v[84:85], v[132:133]
	v_fma_f64 v[86:87], v[134:135], s[4:5], v[40:41]
	v_add_f64 v[40:41], v[10:11], v[88:89]
	v_fma_f64 v[8:9], v[134:135], s[4:5], v[8:9]
	v_add_f64 v[134:135], v[128:129], -v[130:131]
	v_add_f64 v[40:41], v[40:41], v[90:91]
	v_add_f64 v[40:41], v[40:41], v[92:93]
	;; [unrolled: 1-line block ×4, first 2 shown]
	v_fma_f64 v[40:41], v[40:41], -0.5, v[10:11]
	v_fma_f64 v[80:81], v[102:103], s[14:15], v[40:41]
	v_fma_f64 v[40:41], v[102:103], s[2:3], v[40:41]
	;; [unrolled: 1-line block ×6, first 2 shown]
	v_add_f64 v[40:41], v[88:89], v[94:95]
	v_add_f64 v[88:89], v[90:91], -v[88:89]
	v_add_f64 v[90:91], v[92:93], -v[94:95]
	;; [unrolled: 1-line block ×4, first 2 shown]
	v_fma_f64 v[10:11], v[40:41], -0.5, v[10:11]
	v_add_f64 v[90:91], v[88:89], v[90:91]
	v_fma_f64 v[40:41], v[98:99], s[2:3], v[10:11]
	v_fma_f64 v[10:11], v[98:99], s[14:15], v[10:11]
	v_add_f64 v[98:99], v[96:97], -v[100:101]
	v_fma_f64 v[40:41], v[102:103], s[6:7], v[40:41]
	v_fma_f64 v[10:11], v[102:103], s[8:9], v[10:11]
	v_add_f64 v[102:103], v[130:131], -v[128:129]
	v_fma_f64 v[88:89], v[90:91], s[4:5], v[40:41]
	v_add_f64 v[40:41], v[4:5], v[96:97]
	v_fma_f64 v[10:11], v[90:91], s[4:5], v[10:11]
	v_add_f64 v[102:103], v[98:99], v[102:103]
	v_add_f64 v[40:41], v[40:41], v[100:101]
	;; [unrolled: 1-line block ×5, first 2 shown]
	v_add_f64 v[128:129], v[100:101], -v[128:129]
	v_fma_f64 v[40:41], v[40:41], -0.5, v[4:5]
	v_fma_f64 v[94:95], v[92:93], s[2:3], v[40:41]
	v_fma_f64 v[40:41], v[92:93], s[14:15], v[40:41]
	;; [unrolled: 1-line block ×6, first 2 shown]
	v_add_f64 v[40:41], v[96:97], v[130:131]
	v_add_f64 v[102:103], v[100:101], -v[96:97]
	v_add_f64 v[130:131], v[96:97], -v[130:131]
	;; [unrolled: 1-line block ×3, first 2 shown]
	v_fma_f64 v[4:5], v[40:41], -0.5, v[4:5]
	v_add_f64 v[134:135], v[102:103], v[134:135]
	v_fma_f64 v[40:41], v[132:133], s[14:15], v[4:5]
	v_fma_f64 v[4:5], v[132:133], s[2:3], v[4:5]
	v_add_f64 v[132:133], v[126:127], -v[124:125]
	v_fma_f64 v[40:41], v[92:93], s[8:9], v[40:41]
	v_fma_f64 v[4:5], v[92:93], s[6:7], v[4:5]
	v_add_f64 v[132:133], v[100:101], v[132:133]
	v_fma_f64 v[102:103], v[134:135], s[4:5], v[40:41]
	v_add_f64 v[40:41], v[6:7], v[104:105]
	v_fma_f64 v[4:5], v[134:135], s[4:5], v[4:5]
	v_add_f64 v[134:135], v[118:119], -v[122:123]
	v_add_f64 v[40:41], v[40:41], v[120:121]
	v_add_f64 v[40:41], v[40:41], v[124:125]
	;; [unrolled: 1-line block ×4, first 2 shown]
	v_fma_f64 v[40:41], v[40:41], -0.5, v[6:7]
	v_fma_f64 v[96:97], v[130:131], s[14:15], v[40:41]
	v_fma_f64 v[40:41], v[130:131], s[2:3], v[40:41]
	;; [unrolled: 1-line block ×6, first 2 shown]
	v_add_f64 v[40:41], v[104:105], v[126:127]
	v_add_f64 v[104:105], v[120:121], -v[104:105]
	v_add_f64 v[120:121], v[124:125], -v[126:127]
	;; [unrolled: 1-line block ×4, first 2 shown]
	v_fma_f64 v[6:7], v[40:41], -0.5, v[6:7]
	v_add_f64 v[120:121], v[104:105], v[120:121]
	v_fma_f64 v[40:41], v[128:129], s[2:3], v[6:7]
	v_fma_f64 v[6:7], v[128:129], s[14:15], v[6:7]
	v_add_f64 v[128:129], v[114:115], -v[116:117]
	v_fma_f64 v[40:41], v[130:131], s[6:7], v[40:41]
	v_fma_f64 v[6:7], v[130:131], s[8:9], v[6:7]
	v_add_f64 v[130:131], v[108:109], -v[110:111]
	v_add_f64 v[128:129], v[128:129], v[132:133]
	v_add_f64 v[132:133], v[116:117], -v[114:115]
	v_fma_f64 v[104:105], v[120:121], s[4:5], v[40:41]
	v_add_f64 v[40:41], v[0:1], v[114:115]
	v_fma_f64 v[6:7], v[120:121], s[4:5], v[6:7]
	v_add_f64 v[132:133], v[132:133], v[134:135]
	v_add_f64 v[40:41], v[40:41], v[116:117]
	;; [unrolled: 1-line block ×5, first 2 shown]
	v_add_f64 v[116:117], v[116:117], -v[118:119]
	v_fma_f64 v[40:41], v[40:41], -0.5, v[0:1]
	v_fma_f64 v[120:121], v[126:127], s[2:3], v[40:41]
	v_fma_f64 v[40:41], v[126:127], s[14:15], v[40:41]
	;; [unrolled: 1-line block ×6, first 2 shown]
	v_add_f64 v[40:41], v[114:115], v[122:123]
	v_add_f64 v[114:115], v[114:115], -v[122:123]
	v_fma_f64 v[40:41], v[40:41], -0.5, v[0:1]
	v_fma_f64 v[0:1], v[130:131], s[14:15], v[40:41]
	v_fma_f64 v[40:41], v[130:131], s[2:3], v[40:41]
	v_add_f64 v[130:131], v[112:113], -v[110:111]
	v_fma_f64 v[0:1], v[126:127], s[8:9], v[0:1]
	v_fma_f64 v[40:41], v[126:127], s[6:7], v[40:41]
	;; [unrolled: 1-line block ×4, first 2 shown]
	v_add_f64 v[40:41], v[2:3], v[162:163]
	v_add_f64 v[40:41], v[40:41], v[108:109]
	;; [unrolled: 1-line block ×5, first 2 shown]
	v_add_f64 v[110:111], v[110:111], -v[112:113]
	v_fma_f64 v[40:41], v[40:41], -0.5, v[2:3]
	v_fma_f64 v[122:123], v[114:115], s[14:15], v[40:41]
	v_fma_f64 v[40:41], v[114:115], s[2:3], v[40:41]
	;; [unrolled: 1-line block ×3, first 2 shown]
	v_add_f64 v[122:123], v[162:163], -v[108:109]
	v_fma_f64 v[40:41], v[116:117], s[8:9], v[40:41]
	v_add_f64 v[108:109], v[108:109], -v[162:163]
	v_add_f64 v[130:131], v[122:123], v[130:131]
	v_add_f64 v[108:109], v[108:109], v[110:111]
	v_fma_f64 v[122:123], v[130:131], s[4:5], v[118:119]
	v_fma_f64 v[130:131], v[130:131], s[4:5], v[40:41]
	v_add_f64 v[40:41], v[162:163], v[112:113]
	v_fma_f64 v[40:41], v[40:41], -0.5, v[2:3]
	v_fma_f64 v[2:3], v[116:117], s[2:3], v[40:41]
	v_fma_f64 v[40:41], v[116:117], s[14:15], v[40:41]
	;; [unrolled: 1-line block ×6, first 2 shown]
	v_mul_u32_u24_e32 v40, 0x4b, v164
	v_add_lshl_u32 v159, v40, v165, 4
	ds_write_b128 v159, v[16:19]
	ds_write_b128 v159, v[24:27] offset:240
	ds_write_b128 v159, v[32:35] offset:480
	;; [unrolled: 1-line block ×4, first 2 shown]
	v_mul_u32_u24_e32 v16, 0x4b, v166
	v_add_lshl_u32 v169, v16, v167, 4
	v_mad_legacy_u16 v16, v172, s20, v173
	v_lshlrev_b32_e32 v16, 4, v16
	ds_write_b128 v169, v[36:39]
	ds_write_b128 v169, v[46:49] offset:240
	ds_write_b128 v169, v[54:57] offset:480
	;; [unrolled: 1-line block ×4, first 2 shown]
	buffer_store_dword v16, off, s[28:31], 0 offset:1536 ; 4-byte Folded Spill
	ds_write_b128 v16, v[58:61]
	ds_write_b128 v16, v[66:69] offset:240
	ds_write_b128 v16, v[70:73] offset:480
	;; [unrolled: 1-line block ×4, first 2 shown]
	v_mad_legacy_u16 v12, v174, s20, v175
	v_lshlrev_b32_e32 v12, 4, v12
	buffer_store_dword v12, off, s[28:31], 0 offset:1320 ; 4-byte Folded Spill
	ds_write_b128 v12, v[74:77]
	ds_write_b128 v12, v[82:85] offset:240
	ds_write_b128 v12, v[86:89] offset:480
	;; [unrolled: 1-line block ×4, first 2 shown]
	v_mad_legacy_u16 v8, v196, s20, v197
	v_lshlrev_b32_e32 v8, 4, v8
	buffer_store_dword v8, off, s[28:31], 0 offset:1040 ; 4-byte Folded Spill
	ds_write_b128 v8, v[90:93]
	ds_write_b128 v8, v[98:101] offset:240
	ds_write_b128 v8, v[102:105] offset:480
	;; [unrolled: 1-line block ×4, first 2 shown]
	v_add_u32_e32 v104, 0xffffffb5, v228
	v_cndmask_b32_e32 v154, v104, v228, vcc
	v_mul_i32_i24_e32 v104, 0x90, v154
	v_mad_legacy_u16 v4, v198, s20, v199
	v_mul_hi_i32_i24_e32 v105, 0x90, v154
	v_add_co_u32_e32 v104, vcc, s10, v104
	v_lshlrev_b32_e32 v4, 4, v4
	v_addc_co_u32_e32 v105, vcc, v216, v105, vcc
	buffer_store_dword v4, off, s[28:31], 0 offset:664 ; 4-byte Folded Spill
	ds_write_b128 v4, v[124:127]
	ds_write_b128 v4, v[120:123] offset:240
	ds_write_b128 v4, v[0:3] offset:480
	;; [unrolled: 1-line block ×4, first 2 shown]
	s_waitcnt vmcnt(0) lgkmcnt(0)
	s_barrier
	ds_read_b128 v[4:7], v106
	ds_read_b128 v[84:87], v106 offset:6000
	ds_read_b128 v[88:91], v106 offset:12000
	;; [unrolled: 1-line block ×29, first 2 shown]
	global_load_dwordx4 v[128:131], v[104:105], off offset:1200
	global_load_dwordx4 v[124:127], v[104:105], off offset:1184
	;; [unrolled: 1-line block ×4, first 2 shown]
	s_movk_i32 s20, 0x90
	s_waitcnt vmcnt(0) lgkmcnt(14)
	v_mul_f64 v[120:121], v[86:87], v[140:141]
	v_fma_f64 v[132:133], v[84:85], v[138:139], -v[120:121]
	buffer_store_dword v138, off, s[28:31], 0 offset:812 ; 4-byte Folded Spill
	s_nop 0
	buffer_store_dword v139, off, s[28:31], 0 offset:816 ; 4-byte Folded Spill
	buffer_store_dword v140, off, s[28:31], 0 offset:820 ; 4-byte Folded Spill
	;; [unrolled: 1-line block ×4, first 2 shown]
	s_nop 0
	buffer_store_dword v135, off, s[28:31], 0 offset:848 ; 4-byte Folded Spill
	buffer_store_dword v136, off, s[28:31], 0 offset:852 ; 4-byte Folded Spill
	;; [unrolled: 1-line block ×3, first 2 shown]
	v_mul_f64 v[84:85], v[84:85], v[140:141]
	v_fma_f64 v[122:123], v[86:87], v[138:139], v[84:85]
	v_mul_f64 v[84:85], v[90:91], v[136:137]
	v_fma_f64 v[146:147], v[88:89], v[134:135], -v[84:85]
	v_mul_f64 v[84:85], v[88:89], v[136:137]
	v_mov_b32_e32 v86, v124
	v_mov_b32_e32 v87, v125
	;; [unrolled: 1-line block ×4, first 2 shown]
	buffer_store_dword v86, off, s[28:31], 0 offset:876 ; 4-byte Folded Spill
	s_nop 0
	buffer_store_dword v87, off, s[28:31], 0 offset:880 ; 4-byte Folded Spill
	buffer_store_dword v88, off, s[28:31], 0 offset:884 ; 4-byte Folded Spill
	;; [unrolled: 1-line block ×4, first 2 shown]
	s_nop 0
	buffer_store_dword v129, off, s[28:31], 0 offset:912 ; 4-byte Folded Spill
	buffer_store_dword v130, off, s[28:31], 0 offset:916 ; 4-byte Folded Spill
	;; [unrolled: 1-line block ×3, first 2 shown]
	v_fma_f64 v[142:143], v[90:91], v[134:135], v[84:85]
	v_mul_f64 v[84:85], v[94:95], v[88:89]
	v_fma_f64 v[126:127], v[92:93], v[86:87], -v[84:85]
	v_mul_f64 v[84:85], v[92:93], v[88:89]
	v_fma_f64 v[124:125], v[94:95], v[86:87], v[84:85]
	v_mul_f64 v[84:85], v[98:99], v[130:131]
	v_fma_f64 v[148:149], v[96:97], v[128:129], -v[84:85]
	v_mul_f64 v[84:85], v[96:97], v[130:131]
	global_load_dwordx4 v[86:89], v[104:105], off offset:1264
	global_load_dwordx4 v[90:93], v[104:105], off offset:1248
	;; [unrolled: 1-line block ×4, first 2 shown]
	s_waitcnt vmcnt(0)
	buffer_store_dword v134, off, s[28:31], 0 offset:976 ; 4-byte Folded Spill
	s_nop 0
	buffer_store_dword v135, off, s[28:31], 0 offset:980 ; 4-byte Folded Spill
	buffer_store_dword v136, off, s[28:31], 0 offset:984 ; 4-byte Folded Spill
	buffer_store_dword v137, off, s[28:31], 0 offset:988 ; 4-byte Folded Spill
	buffer_store_dword v94, off, s[28:31], 0 offset:1008 ; 4-byte Folded Spill
	s_nop 0
	buffer_store_dword v95, off, s[28:31], 0 offset:1012 ; 4-byte Folded Spill
	buffer_store_dword v96, off, s[28:31], 0 offset:1016 ; 4-byte Folded Spill
	buffer_store_dword v97, off, s[28:31], 0 offset:1020 ; 4-byte Folded Spill
	buffer_store_dword v90, off, s[28:31], 0 offset:1024 ; 4-byte Folded Spill
	s_nop 0
	buffer_store_dword v91, off, s[28:31], 0 offset:1028 ; 4-byte Folded Spill
	buffer_store_dword v92, off, s[28:31], 0 offset:1032 ; 4-byte Folded Spill
	buffer_store_dword v93, off, s[28:31], 0 offset:1036 ; 4-byte Folded Spill
	buffer_store_dword v86, off, s[28:31], 0 offset:1060 ; 4-byte Folded Spill
	s_nop 0
	buffer_store_dword v87, off, s[28:31], 0 offset:1064 ; 4-byte Folded Spill
	buffer_store_dword v88, off, s[28:31], 0 offset:1068 ; 4-byte Folded Spill
	buffer_store_dword v89, off, s[28:31], 0 offset:1072 ; 4-byte Folded Spill
	v_fma_f64 v[144:145], v[98:99], v[128:129], v[84:85]
	v_mul_f64 v[84:85], v[102:103], v[136:137]
	v_fma_f64 v[130:131], v[100:101], v[134:135], -v[84:85]
	v_mul_f64 v[84:85], v[100:101], v[136:137]
	v_fma_f64 v[128:129], v[102:103], v[134:135], v[84:85]
	v_mul_f64 v[84:85], v[110:111], v[96:97]
	v_fma_f64 v[218:219], v[108:109], v[94:95], -v[84:85]
	v_mul_f64 v[84:85], v[108:109], v[96:97]
	;; [unrolled: 4-line block ×4, first 2 shown]
	v_fma_f64 v[222:223], v[118:119], v[86:87], v[84:85]
	global_load_dwordx4 v[86:89], v[104:105], off offset:1280
	s_waitcnt vmcnt(0)
	buffer_store_dword v86, off, s[28:31], 0 offset:1044 ; 4-byte Folded Spill
	s_nop 0
	buffer_store_dword v87, off, s[28:31], 0 offset:1048 ; 4-byte Folded Spill
	buffer_store_dword v88, off, s[28:31], 0 offset:1052 ; 4-byte Folded Spill
	;; [unrolled: 1-line block ×3, first 2 shown]
	v_mul_f64 v[84:85], v[157:158], v[88:89]
	v_fma_f64 v[140:141], v[155:156], v[86:87], -v[84:85]
	v_mul_f64 v[84:85], v[155:156], v[88:89]
	v_fma_f64 v[138:139], v[157:158], v[86:87], v[84:85]
	v_mul_lo_u16_sdwa v84, v107, s21 dst_sel:DWORD dst_unused:UNUSED_PAD src0_sel:BYTE_0 src1_sel:DWORD
	v_lshrrev_b16_e32 v155, 14, v84
	v_mul_lo_u16_e32 v84, 0x4b, v155
	v_sub_u16_e32 v84, v107, v84
	v_and_b32_e32 v157, 0xff, v84
	v_mov_b32_e32 v85, s11
	v_mov_b32_e32 v84, s10
	v_mad_u64_u32 v[84:85], s[20:21], v157, s20, v[84:85]
	global_load_dwordx4 v[88:91], v[84:85], off offset:1200
	global_load_dwordx4 v[92:95], v[84:85], off offset:1184
	;; [unrolled: 1-line block ×4, first 2 shown]
	s_mov_b32 s11, 0xb4e9
	s_mov_b32 s20, 0x9b97f4a8
	;; [unrolled: 1-line block ×4, first 2 shown]
	s_waitcnt vmcnt(0)
	v_mul_f64 v[86:87], v[82:83], v[102:103]
	v_fma_f64 v[120:121], v[80:81], v[100:101], -v[86:87]
	buffer_store_dword v100, off, s[28:31], 0 offset:1252 ; 4-byte Folded Spill
	s_nop 0
	buffer_store_dword v101, off, s[28:31], 0 offset:1256 ; 4-byte Folded Spill
	buffer_store_dword v102, off, s[28:31], 0 offset:1260 ; 4-byte Folded Spill
	buffer_store_dword v103, off, s[28:31], 0 offset:1264 ; 4-byte Folded Spill
	buffer_store_dword v96, off, s[28:31], 0 offset:1272 ; 4-byte Folded Spill
	s_nop 0
	buffer_store_dword v97, off, s[28:31], 0 offset:1276 ; 4-byte Folded Spill
	buffer_store_dword v98, off, s[28:31], 0 offset:1280 ; 4-byte Folded Spill
	buffer_store_dword v99, off, s[28:31], 0 offset:1284 ; 4-byte Folded Spill
	;; [unrolled: 5-line block ×4, first 2 shown]
	v_mul_f64 v[80:81], v[80:81], v[102:103]
	v_fma_f64 v[80:81], v[82:83], v[100:101], v[80:81]
	v_mul_f64 v[82:83], v[78:79], v[98:99]
	v_fma_f64 v[82:83], v[76:77], v[96:97], -v[82:83]
	v_mul_f64 v[76:77], v[76:77], v[98:99]
	v_fma_f64 v[78:79], v[78:79], v[96:97], v[76:77]
	v_mul_f64 v[76:77], v[74:75], v[94:95]
	v_fma_f64 v[76:77], v[72:73], v[92:93], -v[76:77]
	;; [unrolled: 4-line block ×3, first 2 shown]
	v_mul_f64 v[68:69], v[68:69], v[90:91]
	v_fma_f64 v[70:71], v[70:71], v[88:89], v[68:69]
	global_load_dwordx4 v[86:89], v[84:85], off offset:1264
	global_load_dwordx4 v[90:93], v[84:85], off offset:1248
	;; [unrolled: 1-line block ×4, first 2 shown]
	s_waitcnt vmcnt(0)
	v_mul_f64 v[68:69], v[66:67], v[100:101]
	v_fma_f64 v[68:69], v[64:65], v[98:99], -v[68:69]
	buffer_store_dword v98, off, s[28:31], 0 offset:1388 ; 4-byte Folded Spill
	s_nop 0
	buffer_store_dword v99, off, s[28:31], 0 offset:1392 ; 4-byte Folded Spill
	buffer_store_dword v100, off, s[28:31], 0 offset:1396 ; 4-byte Folded Spill
	buffer_store_dword v101, off, s[28:31], 0 offset:1400 ; 4-byte Folded Spill
	buffer_store_dword v94, off, s[28:31], 0 offset:1404 ; 4-byte Folded Spill
	s_nop 0
	buffer_store_dword v95, off, s[28:31], 0 offset:1408 ; 4-byte Folded Spill
	buffer_store_dword v96, off, s[28:31], 0 offset:1412 ; 4-byte Folded Spill
	buffer_store_dword v97, off, s[28:31], 0 offset:1416 ; 4-byte Folded Spill
	;; [unrolled: 5-line block ×4, first 2 shown]
	v_mul_f64 v[64:65], v[64:65], v[100:101]
	v_fma_f64 v[64:65], v[66:67], v[98:99], v[64:65]
	s_waitcnt lgkmcnt(13)
	v_mul_f64 v[66:67], v[62:63], v[96:97]
	v_fma_f64 v[66:67], v[60:61], v[94:95], -v[66:67]
	v_mul_f64 v[60:61], v[60:61], v[96:97]
	v_fma_f64 v[62:63], v[62:63], v[94:95], v[60:61]
	s_waitcnt lgkmcnt(12)
	v_mul_f64 v[60:61], v[58:59], v[92:93]
	v_fma_f64 v[60:61], v[56:57], v[90:91], -v[60:61]
	;; [unrolled: 5-line block ×3, first 2 shown]
	v_mul_f64 v[52:53], v[52:53], v[88:89]
	v_fma_f64 v[54:55], v[54:55], v[86:87], v[52:53]
	global_load_dwordx4 v[84:87], v[84:85], off offset:1280
	s_waitcnt vmcnt(0) lgkmcnt(10)
	v_mul_f64 v[52:53], v[50:51], v[86:87]
	v_fma_f64 v[52:53], v[48:49], v[84:85], -v[52:53]
	buffer_store_dword v84, off, s[28:31], 0 offset:1452 ; 4-byte Folded Spill
	s_nop 0
	buffer_store_dword v85, off, s[28:31], 0 offset:1456 ; 4-byte Folded Spill
	buffer_store_dword v86, off, s[28:31], 0 offset:1460 ; 4-byte Folded Spill
	;; [unrolled: 1-line block ×3, first 2 shown]
	v_mul_f64 v[48:49], v[48:49], v[86:87]
	v_fma_f64 v[48:49], v[50:51], v[84:85], v[48:49]
	v_mul_u32_u24_sdwa v50, v180, s11 dst_sel:DWORD dst_unused:UNUSED_PAD src0_sel:WORD_0 src1_sel:DWORD
	v_sub_u16_sdwa v51, v180, v50 dst_sel:DWORD dst_unused:UNUSED_PAD src0_sel:DWORD src1_sel:WORD_1
	v_lshrrev_b16_e32 v51, 1, v51
	v_add_u16_sdwa v50, v51, v50 dst_sel:DWORD dst_unused:UNUSED_PAD src0_sel:DWORD src1_sel:WORD_1
	v_lshrrev_b16_e32 v158, 6, v50
	v_mul_lo_u16_e32 v50, 0x4b, v158
	v_sub_u16_e32 v217, v180, v50
	v_mul_lo_u16_e32 v50, 0x90, v217
	v_add_co_u32_e32 v50, vcc, s10, v50
	v_addc_co_u32_e32 v51, vcc, 0, v216, vcc
	global_load_dwordx4 v[90:93], v[50:51], off offset:1200
	global_load_dwordx4 v[86:89], v[50:51], off offset:1184
	;; [unrolled: 1-line block ×4, first 2 shown]
	s_movk_i32 s11, 0x4a
	v_cmp_lt_u16_e32 vcc, s11, v228
	s_movk_i32 s11, 0x2eb0
	s_waitcnt vmcnt(0) lgkmcnt(8)
	v_mul_f64 v[84:85], v[46:47], v[210:211]
	v_fma_f64 v[96:97], v[44:45], v[208:209], -v[84:85]
	v_mul_f64 v[44:45], v[44:45], v[210:211]
	v_fma_f64 v[84:85], v[46:47], v[208:209], v[44:45]
	s_waitcnt lgkmcnt(7)
	v_mul_f64 v[44:45], v[42:43], v[214:215]
	v_fma_f64 v[108:109], v[40:41], v[212:213], -v[44:45]
	v_mul_f64 v[40:41], v[40:41], v[214:215]
	v_fma_f64 v[104:105], v[42:43], v[212:213], v[40:41]
	v_mov_b32_e32 v42, v86
	v_mov_b32_e32 v43, v87
	;; [unrolled: 1-line block ×4, first 2 shown]
	buffer_store_dword v42, off, s[28:31], 0 offset:1472 ; 4-byte Folded Spill
	s_nop 0
	buffer_store_dword v43, off, s[28:31], 0 offset:1476 ; 4-byte Folded Spill
	buffer_store_dword v44, off, s[28:31], 0 offset:1480 ; 4-byte Folded Spill
	buffer_store_dword v45, off, s[28:31], 0 offset:1484 ; 4-byte Folded Spill
	buffer_store_dword v90, off, s[28:31], 0 offset:1504 ; 4-byte Folded Spill
	s_nop 0
	buffer_store_dword v91, off, s[28:31], 0 offset:1508 ; 4-byte Folded Spill
	buffer_store_dword v92, off, s[28:31], 0 offset:1512 ; 4-byte Folded Spill
	;; [unrolled: 1-line block ×3, first 2 shown]
	global_load_dwordx4 v[204:207], v[50:51], off offset:1264
	global_load_dwordx4 v[196:199], v[50:51], off offset:1248
	;; [unrolled: 1-line block ×5, first 2 shown]
	s_waitcnt vmcnt(0) lgkmcnt(0)
	s_barrier
	buffer_store_dword v228, off, s[28:31], 0 offset:488 ; 4-byte Folded Spill
	v_mul_f64 v[40:41], v[34:35], v[44:45]
	v_fma_f64 v[88:89], v[32:33], v[42:43], -v[40:41]
	v_mul_f64 v[32:33], v[32:33], v[44:45]
	v_fma_f64 v[86:87], v[34:35], v[42:43], v[32:33]
	v_mul_f64 v[32:33], v[30:31], v[92:93]
	v_fma_f64 v[110:111], v[28:29], v[90:91], -v[32:33]
	v_mul_f64 v[28:29], v[28:29], v[92:93]
	v_fma_f64 v[152:153], v[30:31], v[90:91], v[28:29]
	;; [unrolled: 4-line block ×4, first 2 shown]
	v_mul_f64 v[20:21], v[18:19], v[198:199]
	v_fma_f64 v[98:99], v[16:17], v[196:197], -v[20:21]
	v_mul_f64 v[16:17], v[16:17], v[198:199]
	v_add_f64 v[20:21], v[134:135], -v[138:139]
	v_fma_f64 v[94:95], v[18:19], v[196:197], v[16:17]
	v_mul_f64 v[16:17], v[14:15], v[206:207]
	v_add_f64 v[18:19], v[220:221], -v[218:219]
	v_fma_f64 v[118:119], v[12:13], v[204:205], -v[16:17]
	v_mul_f64 v[12:13], v[12:13], v[206:207]
	v_add_f64 v[16:17], v[146:147], -v[148:149]
	v_fma_f64 v[114:115], v[14:15], v[204:205], v[12:13]
	v_mul_f64 v[12:13], v[10:11], v[162:163]
	v_add_f64 v[14:15], v[144:145], -v[150:151]
	v_add_f64 v[16:17], v[16:17], v[18:19]
	v_add_f64 v[18:19], v[138:139], -v[134:135]
	v_fma_f64 v[102:103], v[8:9], v[160:161], -v[12:13]
	v_mul_f64 v[8:9], v[8:9], v[162:163]
	v_fma_f64 v[100:101], v[10:11], v[160:161], v[8:9]
	v_add_f64 v[8:9], v[4:5], v[146:147]
	v_add_f64 v[10:11], v[142:143], -v[222:223]
	v_add_f64 v[8:9], v[8:9], v[148:149]
	v_add_f64 v[8:9], v[8:9], v[218:219]
	;; [unrolled: 1-line block ×4, first 2 shown]
	v_fma_f64 v[8:9], v[8:9], -0.5, v[4:5]
	v_fma_f64 v[12:13], v[10:11], s[2:3], v[8:9]
	v_fma_f64 v[8:9], v[10:11], s[14:15], v[8:9]
	;; [unrolled: 1-line block ×6, first 2 shown]
	v_add_f64 v[8:9], v[146:147], v[220:221]
	v_add_f64 v[12:13], v[148:149], -v[146:147]
	v_add_f64 v[16:17], v[218:219], -v[220:221]
	v_fma_f64 v[4:5], v[8:9], -0.5, v[4:5]
	v_add_f64 v[12:13], v[12:13], v[16:17]
	v_add_f64 v[16:17], v[222:223], -v[150:151]
	v_fma_f64 v[8:9], v[14:15], s[14:15], v[4:5]
	v_fma_f64 v[4:5], v[14:15], s[2:3], v[4:5]
	v_add_f64 v[14:15], v[142:143], -v[144:145]
	v_fma_f64 v[8:9], v[10:11], s[8:9], v[8:9]
	v_fma_f64 v[4:5], v[10:11], s[6:7], v[4:5]
	v_add_f64 v[14:15], v[14:15], v[16:17]
	v_add_f64 v[16:17], v[136:137], -v[140:141]
	v_fma_f64 v[32:33], v[12:13], s[4:5], v[8:9]
	v_fma_f64 v[42:43], v[12:13], s[4:5], v[4:5]
	v_add_f64 v[4:5], v[6:7], v[142:143]
	v_add_f64 v[8:9], v[146:147], -v[220:221]
	v_add_f64 v[12:13], v[148:149], -v[218:219]
	v_add_f64 v[4:5], v[4:5], v[144:145]
	v_add_f64 v[4:5], v[4:5], v[150:151]
	v_add_f64 v[46:47], v[4:5], v[222:223]
	v_add_f64 v[4:5], v[144:145], v[150:151]
	v_fma_f64 v[4:5], v[4:5], -0.5, v[6:7]
	v_fma_f64 v[10:11], v[8:9], s[14:15], v[4:5]
	v_fma_f64 v[4:5], v[8:9], s[2:3], v[4:5]
	;; [unrolled: 1-line block ×6, first 2 shown]
	v_add_f64 v[4:5], v[142:143], v[222:223]
	v_add_f64 v[10:11], v[144:145], -v[142:143]
	v_add_f64 v[14:15], v[150:151], -v[222:223]
	v_fma_f64 v[4:5], v[4:5], -0.5, v[6:7]
	v_add_f64 v[10:11], v[10:11], v[14:15]
	v_add_f64 v[14:15], v[140:141], -v[136:137]
	v_fma_f64 v[6:7], v[12:13], s[2:3], v[4:5]
	v_fma_f64 v[4:5], v[12:13], s[14:15], v[4:5]
	v_add_f64 v[12:13], v[126:127], -v[130:131]
	v_fma_f64 v[6:7], v[8:9], s[6:7], v[6:7]
	v_fma_f64 v[4:5], v[8:9], s[8:9], v[4:5]
	v_add_f64 v[12:13], v[12:13], v[14:15]
	v_fma_f64 v[142:143], v[10:11], s[4:5], v[6:7]
	v_fma_f64 v[30:31], v[10:11], s[4:5], v[4:5]
	v_add_f64 v[4:5], v[132:133], v[126:127]
	v_add_f64 v[6:7], v[124:125], -v[138:139]
	v_add_f64 v[10:11], v[128:129], -v[134:135]
	v_add_f64 v[4:5], v[4:5], v[130:131]
	v_add_f64 v[4:5], v[4:5], v[136:137]
	;; [unrolled: 1-line block ×4, first 2 shown]
	v_fma_f64 v[4:5], v[4:5], -0.5, v[132:133]
	v_fma_f64 v[8:9], v[6:7], s[2:3], v[4:5]
	v_fma_f64 v[4:5], v[6:7], s[14:15], v[4:5]
	;; [unrolled: 1-line block ×6, first 2 shown]
	v_add_f64 v[4:5], v[126:127], v[140:141]
	v_add_f64 v[12:13], v[130:131], -v[126:127]
	v_fma_f64 v[4:5], v[4:5], -0.5, v[132:133]
	v_add_f64 v[12:13], v[12:13], v[16:17]
	v_add_f64 v[16:17], v[124:125], -v[128:129]
	v_fma_f64 v[8:9], v[10:11], s[14:15], v[4:5]
	v_fma_f64 v[4:5], v[10:11], s[2:3], v[4:5]
	v_add_f64 v[16:17], v[16:17], v[18:19]
	v_add_f64 v[18:19], v[128:129], -v[124:125]
	v_fma_f64 v[8:9], v[6:7], s[8:9], v[8:9]
	v_fma_f64 v[4:5], v[6:7], s[6:7], v[4:5]
	v_add_f64 v[18:19], v[18:19], v[20:21]
	v_add_f64 v[20:21], v[24:25], v[40:41]
	v_fma_f64 v[132:133], v[12:13], s[4:5], v[8:9]
	v_fma_f64 v[6:7], v[12:13], s[4:5], v[4:5]
	v_add_f64 v[4:5], v[122:123], v[124:125]
	v_add_f64 v[8:9], v[126:127], -v[140:141]
	v_add_f64 v[12:13], v[130:131], -v[136:137]
	v_add_f64 v[4:5], v[4:5], v[128:129]
	v_add_f64 v[4:5], v[4:5], v[134:135]
	v_add_f64 v[144:145], v[4:5], v[138:139]
	v_add_f64 v[4:5], v[128:129], v[134:135]
	v_add_f64 v[22:23], v[46:47], v[144:145]
	v_fma_f64 v[4:5], v[4:5], -0.5, v[122:123]
	v_add_f64 v[46:47], v[46:47], -v[144:145]
	v_fma_f64 v[10:11], v[8:9], s[14:15], v[4:5]
	v_fma_f64 v[4:5], v[8:9], s[2:3], v[4:5]
	;; [unrolled: 1-line block ×6, first 2 shown]
	v_add_f64 v[4:5], v[124:125], v[138:139]
	v_fma_f64 v[4:5], v[4:5], -0.5, v[122:123]
	v_fma_f64 v[16:17], v[12:13], s[2:3], v[4:5]
	v_fma_f64 v[4:5], v[12:13], s[14:15], v[4:5]
	v_fma_f64 v[16:17], v[8:9], s[6:7], v[16:17]
	v_fma_f64 v[4:5], v[8:9], s[8:9], v[4:5]
	v_fma_f64 v[122:123], v[18:19], s[4:5], v[16:17]
	v_fma_f64 v[124:125], v[18:19], s[4:5], v[4:5]
	v_mul_f64 v[4:5], v[10:11], s[8:9]
	v_fma_f64 v[128:129], v[14:15], s[20:21], v[4:5]
	v_mul_f64 v[14:15], v[14:15], s[6:7]
	v_mul_f64 v[4:5], v[122:123], s[2:3]
	v_add_f64 v[16:17], v[28:29], v[128:129]
	v_fma_f64 v[138:139], v[10:11], s[20:21], v[14:15]
	v_mul_f64 v[10:11], v[132:133], s[14:15]
	v_fma_f64 v[130:131], v[132:133], s[4:5], v[4:5]
	v_mul_f64 v[4:5], v[6:7], s[22:23]
	v_add_f64 v[132:133], v[58:59], -v[66:67]
	v_add_f64 v[18:19], v[50:51], v[138:139]
	v_fma_f64 v[122:123], v[122:123], s[4:5], v[10:11]
	v_mul_f64 v[10:11], v[124:125], s[22:23]
	v_fma_f64 v[134:135], v[124:125], s[2:3], v[4:5]
	v_mul_f64 v[4:5], v[44:45], s[24:25]
	v_add_f64 v[12:13], v[32:33], v[130:131]
	v_add_f64 v[32:33], v[32:33], -v[130:131]
	v_add_f64 v[130:131], v[82:83], -v[74:75]
	v_add_f64 v[14:15], v[142:143], v[122:123]
	v_fma_f64 v[124:125], v[6:7], s[14:15], v[10:11]
	v_mul_f64 v[6:7], v[126:127], s[24:25]
	v_add_f64 v[8:9], v[42:43], v[134:135]
	v_fma_f64 v[136:137], v[126:127], s[8:9], v[4:5]
	v_add_f64 v[130:131], v[130:131], v[132:133]
	v_add_f64 v[132:133], v[74:75], -v[82:83]
	v_add_f64 v[10:11], v[30:31], v[124:125]
	v_fma_f64 v[126:127], v[44:45], s[6:7], v[6:7]
	v_add_f64 v[44:45], v[24:25], -v[40:41]
	v_add_f64 v[40:41], v[28:29], -v[128:129]
	;; [unrolled: 1-line block ×4, first 2 shown]
	v_add_f64 v[50:51], v[36:37], v[82:83]
	v_add_f64 v[4:5], v[34:35], v[136:137]
	v_add_f64 v[24:25], v[34:35], -v[136:137]
	v_add_f64 v[34:35], v[142:143], -v[122:123]
	;; [unrolled: 1-line block ×4, first 2 shown]
	v_add_f64 v[6:7], v[26:27], v[126:127]
	v_add_f64 v[26:27], v[26:27], -v[126:127]
	v_add_f64 v[50:51], v[50:51], v[74:75]
	v_add_f64 v[128:129], v[70:71], -v[62:63]
	v_add_f64 v[134:135], v[66:67], -v[58:59]
	v_add_f64 v[50:51], v[50:51], v[66:67]
	v_add_f64 v[132:133], v[132:133], v[134:135]
	;; [unrolled: 1-line block ×4, first 2 shown]
	v_add_f64 v[74:75], v[74:75], -v[66:67]
	v_add_f64 v[66:67], v[78:79], -v[70:71]
	v_fma_f64 v[50:51], v[50:51], -0.5, v[36:37]
	v_fma_f64 v[126:127], v[124:125], s[2:3], v[50:51]
	v_fma_f64 v[50:51], v[124:125], s[14:15], v[50:51]
	v_fma_f64 v[126:127], v[128:129], s[8:9], v[126:127]
	v_fma_f64 v[50:51], v[128:129], s[6:7], v[50:51]
	v_fma_f64 v[126:127], v[130:131], s[4:5], v[126:127]
	v_fma_f64 v[130:131], v[130:131], s[4:5], v[50:51]
	v_add_f64 v[50:51], v[82:83], v[58:59]
	v_fma_f64 v[36:37], v[50:51], -0.5, v[36:37]
	v_fma_f64 v[50:51], v[128:129], s[14:15], v[36:37]
	v_fma_f64 v[36:37], v[128:129], s[2:3], v[36:37]
	;; [unrolled: 1-line block ×6, first 2 shown]
	v_add_f64 v[36:37], v[38:39], v[78:79]
	v_add_f64 v[50:51], v[82:83], -v[58:59]
	v_add_f64 v[82:83], v[54:55], -v[62:63]
	v_add_f64 v[36:37], v[36:37], v[70:71]
	v_add_f64 v[66:67], v[66:67], v[82:83]
	v_add_f64 v[82:83], v[60:61], -v[52:53]
	v_add_f64 v[36:37], v[36:37], v[62:63]
	v_add_f64 v[128:129], v[36:37], v[54:55]
	;; [unrolled: 1-line block ×3, first 2 shown]
	v_fma_f64 v[36:37], v[36:37], -0.5, v[38:39]
	v_fma_f64 v[58:59], v[50:51], s[14:15], v[36:37]
	v_fma_f64 v[36:37], v[50:51], s[2:3], v[36:37]
	;; [unrolled: 1-line block ×6, first 2 shown]
	v_add_f64 v[36:37], v[78:79], v[54:55]
	v_add_f64 v[58:59], v[70:71], -v[78:79]
	v_add_f64 v[54:55], v[62:63], -v[54:55]
	;; [unrolled: 1-line block ×3, first 2 shown]
	v_fma_f64 v[36:37], v[36:37], -0.5, v[38:39]
	v_add_f64 v[54:55], v[58:59], v[54:55]
	v_add_f64 v[58:59], v[76:77], -v[68:69]
	v_fma_f64 v[38:39], v[74:75], s[2:3], v[36:37]
	v_fma_f64 v[36:37], v[74:75], s[14:15], v[36:37]
	v_add_f64 v[58:59], v[58:59], v[62:63]
	v_add_f64 v[62:63], v[68:69], -v[76:77]
	v_fma_f64 v[38:39], v[50:51], s[6:7], v[38:39]
	v_fma_f64 v[36:37], v[50:51], s[8:9], v[36:37]
	v_add_f64 v[62:63], v[62:63], v[82:83]
	v_fma_f64 v[136:137], v[54:55], s[4:5], v[38:39]
	v_fma_f64 v[70:71], v[54:55], s[4:5], v[36:37]
	v_add_f64 v[36:37], v[120:121], v[76:77]
	v_add_f64 v[38:39], v[72:73], -v[48:49]
	v_add_f64 v[54:55], v[64:65], -v[56:57]
	v_add_f64 v[36:37], v[36:37], v[68:69]
	v_add_f64 v[36:37], v[36:37], v[60:61]
	;; [unrolled: 1-line block ×4, first 2 shown]
	v_fma_f64 v[36:37], v[36:37], -0.5, v[120:121]
	v_fma_f64 v[50:51], v[38:39], s[2:3], v[36:37]
	v_fma_f64 v[36:37], v[38:39], s[14:15], v[36:37]
	;; [unrolled: 1-line block ×6, first 2 shown]
	v_add_f64 v[36:37], v[76:77], v[52:53]
	v_add_f64 v[52:53], v[76:77], -v[52:53]
	v_fma_f64 v[36:37], v[36:37], -0.5, v[120:121]
	v_fma_f64 v[58:59], v[54:55], s[14:15], v[36:37]
	v_fma_f64 v[36:37], v[54:55], s[2:3], v[36:37]
	;; [unrolled: 1-line block ×6, first 2 shown]
	v_add_f64 v[36:37], v[80:81], v[72:73]
	v_add_f64 v[58:59], v[68:69], -v[60:61]
	v_add_f64 v[60:61], v[72:73], -v[64:65]
	;; [unrolled: 1-line block ×3, first 2 shown]
	v_add_f64 v[36:37], v[36:37], v[64:65]
	v_add_f64 v[60:61], v[60:61], v[62:63]
	v_add_f64 v[62:63], v[64:65], -v[72:73]
	v_add_f64 v[36:37], v[36:37], v[56:57]
	v_add_f64 v[120:121], v[36:37], v[48:49]
	;; [unrolled: 1-line block ×3, first 2 shown]
	v_fma_f64 v[36:37], v[36:37], -0.5, v[80:81]
	v_fma_f64 v[54:55], v[52:53], s[14:15], v[36:37]
	v_fma_f64 v[36:37], v[52:53], s[2:3], v[36:37]
	;; [unrolled: 1-line block ×6, first 2 shown]
	v_add_f64 v[36:37], v[72:73], v[48:49]
	v_add_f64 v[48:49], v[56:57], -v[48:49]
	v_fma_f64 v[36:37], v[36:37], -0.5, v[80:81]
	v_add_f64 v[48:49], v[62:63], v[48:49]
	v_add_f64 v[80:81], v[122:123], -v[74:75]
	v_add_f64 v[62:63], v[128:129], v[120:121]
	v_fma_f64 v[60:61], v[58:59], s[2:3], v[36:37]
	v_fma_f64 v[36:37], v[58:59], s[14:15], v[36:37]
	;; [unrolled: 1-line block ×6, first 2 shown]
	v_mul_f64 v[36:37], v[54:55], s[8:9]
	v_add_f64 v[60:61], v[122:123], v[74:75]
	v_add_f64 v[122:123], v[110:111], v[116:117]
	v_fma_f64 v[76:77], v[50:51], s[20:21], v[36:37]
	v_mul_f64 v[36:37], v[64:65], s[2:3]
	v_mul_f64 v[50:51], v[50:51], s[6:7]
	v_fma_f64 v[122:123], v[122:123], -0.5, v[0:1]
	v_add_f64 v[56:57], v[126:127], v[76:77]
	v_fma_f64 v[138:139], v[82:83], s[4:5], v[36:37]
	v_mul_f64 v[36:37], v[38:39], s[22:23]
	v_fma_f64 v[144:145], v[54:55], s[20:21], v[50:51]
	v_mul_f64 v[50:51], v[82:83], s[14:15]
	v_add_f64 v[76:77], v[126:127], -v[76:77]
	v_add_f64 v[82:83], v[128:129], -v[120:121]
	;; [unrolled: 1-line block ×3, first 2 shown]
	v_add_f64 v[120:121], v[0:1], v[108:109]
	v_add_f64 v[52:53], v[134:135], v[138:139]
	v_fma_f64 v[140:141], v[72:73], s[2:3], v[36:37]
	v_mul_f64 v[36:37], v[78:79], s[24:25]
	v_fma_f64 v[146:147], v[64:65], s[4:5], v[50:51]
	v_mul_f64 v[50:51], v[72:73], s[22:23]
	v_add_f64 v[58:59], v[132:133], v[144:145]
	v_add_f64 v[72:73], v[134:135], -v[138:139]
	v_add_f64 v[134:135], v[116:117], -v[118:119]
	v_add_f64 v[120:121], v[120:121], v[110:111]
	v_add_f64 v[48:49], v[124:125], v[140:141]
	v_fma_f64 v[142:143], v[68:69], s[8:9], v[36:37]
	v_add_f64 v[54:55], v[136:137], v[146:147]
	v_fma_f64 v[148:149], v[38:39], s[14:15], v[50:51]
	v_mul_f64 v[38:39], v[68:69], s[24:25]
	v_add_f64 v[68:69], v[124:125], -v[140:141]
	v_add_f64 v[124:125], v[104:105], -v[114:115]
	v_add_f64 v[120:121], v[120:121], v[116:117]
	v_add_f64 v[74:75], v[136:137], -v[146:147]
	v_add_f64 v[36:37], v[130:131], v[142:143]
	v_add_f64 v[64:65], v[130:131], -v[142:143]
	v_add_f64 v[130:131], v[108:109], -v[110:111]
	v_fma_f64 v[150:151], v[78:79], s[6:7], v[38:39]
	v_add_f64 v[78:79], v[132:133], -v[144:145]
	v_fma_f64 v[126:127], v[124:125], s[2:3], v[122:123]
	;; [unrolled: 2-line block ×3, first 2 shown]
	v_add_f64 v[120:121], v[120:121], v[118:119]
	v_add_f64 v[136:137], v[98:99], -v[102:103]
	v_add_f64 v[50:51], v[70:71], v[148:149]
	v_add_f64 v[70:71], v[70:71], -v[148:149]
	v_add_f64 v[38:39], v[66:67], v[150:151]
	v_fma_f64 v[126:127], v[128:129], s[8:9], v[126:127]
	v_add_f64 v[130:131], v[130:131], v[132:133]
	v_fma_f64 v[122:123], v[128:129], s[6:7], v[122:123]
	v_add_f64 v[132:133], v[110:111], -v[108:109]
	v_add_f64 v[110:111], v[110:111], -v[116:117]
	v_add_f64 v[66:67], v[66:67], -v[150:151]
	v_fma_f64 v[126:127], v[130:131], s[4:5], v[126:127]
	v_fma_f64 v[122:123], v[130:131], s[4:5], v[122:123]
	v_add_f64 v[130:131], v[108:109], v[118:119]
	v_add_f64 v[132:133], v[132:133], v[134:135]
	v_add_f64 v[108:109], v[108:109], -v[118:119]
	v_add_f64 v[134:135], v[102:103], -v[98:99]
	v_fma_f64 v[0:1], v[130:131], -0.5, v[0:1]
	v_fma_f64 v[130:131], v[128:129], s[14:15], v[0:1]
	v_fma_f64 v[0:1], v[128:129], s[2:3], v[0:1]
	;; [unrolled: 1-line block ×6, first 2 shown]
	v_add_f64 v[0:1], v[2:3], v[104:105]
	v_add_f64 v[132:133], v[114:115], -v[112:113]
	v_add_f64 v[0:1], v[0:1], v[152:153]
	v_add_f64 v[0:1], v[0:1], v[112:113]
	;; [unrolled: 1-line block ×4, first 2 shown]
	v_add_f64 v[112:113], v[112:113], -v[114:115]
	v_fma_f64 v[0:1], v[0:1], -0.5, v[2:3]
	v_fma_f64 v[118:119], v[108:109], s[14:15], v[0:1]
	v_fma_f64 v[0:1], v[108:109], s[2:3], v[0:1]
	;; [unrolled: 1-line block ×3, first 2 shown]
	v_add_f64 v[118:119], v[104:105], -v[152:153]
	v_fma_f64 v[0:1], v[110:111], s[8:9], v[0:1]
	v_add_f64 v[118:119], v[118:119], v[132:133]
	v_fma_f64 v[132:133], v[118:119], s[4:5], v[116:117]
	v_add_f64 v[116:117], v[104:105], v[114:115]
	v_add_f64 v[104:105], v[152:153], -v[104:105]
	v_fma_f64 v[0:1], v[118:119], s[4:5], v[0:1]
	v_add_f64 v[114:115], v[90:91], -v[94:95]
	v_fma_f64 v[2:3], v[116:117], -0.5, v[2:3]
	v_add_f64 v[104:105], v[104:105], v[112:113]
	v_fma_f64 v[116:117], v[110:111], s[2:3], v[2:3]
	v_fma_f64 v[2:3], v[110:111], s[14:15], v[2:3]
	v_add_f64 v[110:111], v[86:87], -v[100:101]
	v_fma_f64 v[116:117], v[108:109], s[6:7], v[116:117]
	v_fma_f64 v[2:3], v[108:109], s[8:9], v[2:3]
	v_add_f64 v[108:109], v[92:93], v[98:99]
	v_fma_f64 v[118:119], v[104:105], s[4:5], v[116:117]
	v_add_f64 v[116:117], v[88:89], -v[92:93]
	v_fma_f64 v[108:109], v[108:109], -0.5, v[96:97]
	v_fma_f64 v[2:3], v[104:105], s[4:5], v[2:3]
	v_add_f64 v[104:105], v[96:97], v[88:89]
	v_add_f64 v[116:117], v[116:117], v[134:135]
	v_fma_f64 v[112:113], v[110:111], s[2:3], v[108:109]
	v_fma_f64 v[108:109], v[110:111], s[14:15], v[108:109]
	v_add_f64 v[134:135], v[92:93], -v[88:89]
	v_add_f64 v[104:105], v[104:105], v[92:93]
	v_add_f64 v[92:93], v[92:93], -v[98:99]
	v_fma_f64 v[112:113], v[114:115], s[8:9], v[112:113]
	v_fma_f64 v[108:109], v[114:115], s[6:7], v[108:109]
	v_add_f64 v[134:135], v[134:135], v[136:137]
	v_add_f64 v[104:105], v[104:105], v[98:99]
	v_fma_f64 v[112:113], v[116:117], s[4:5], v[112:113]
	v_fma_f64 v[108:109], v[116:117], s[4:5], v[108:109]
	v_add_f64 v[116:117], v[88:89], v[102:103]
	v_add_f64 v[88:89], v[88:89], -v[102:103]
	v_add_f64 v[104:105], v[104:105], v[102:103]
	v_fma_f64 v[96:97], v[116:117], -0.5, v[96:97]
	v_fma_f64 v[116:117], v[114:115], s[14:15], v[96:97]
	v_fma_f64 v[96:97], v[114:115], s[2:3], v[96:97]
	;; [unrolled: 1-line block ×6, first 2 shown]
	v_add_f64 v[96:97], v[84:85], v[86:87]
	v_add_f64 v[134:135], v[100:101], -v[94:95]
	v_add_f64 v[96:97], v[96:97], v[90:91]
	v_add_f64 v[96:97], v[96:97], v[94:95]
	;; [unrolled: 1-line block ×4, first 2 shown]
	v_fma_f64 v[96:97], v[96:97], -0.5, v[84:85]
	v_fma_f64 v[102:103], v[88:89], s[14:15], v[96:97]
	v_fma_f64 v[96:97], v[88:89], s[2:3], v[96:97]
	;; [unrolled: 1-line block ×3, first 2 shown]
	v_add_f64 v[102:103], v[86:87], -v[90:91]
	v_fma_f64 v[96:97], v[92:93], s[8:9], v[96:97]
	v_add_f64 v[102:103], v[102:103], v[134:135]
	v_fma_f64 v[98:99], v[102:103], s[4:5], v[98:99]
	v_fma_f64 v[102:103], v[102:103], s[4:5], v[96:97]
	v_add_f64 v[96:97], v[86:87], v[100:101]
	v_add_f64 v[86:87], v[90:91], -v[86:87]
	v_add_f64 v[90:91], v[94:95], -v[100:101]
	v_fma_f64 v[84:85], v[96:97], -0.5, v[84:85]
	v_add_f64 v[86:87], v[86:87], v[90:91]
	v_mul_f64 v[90:91], v[112:113], s[6:7]
	v_fma_f64 v[96:97], v[92:93], s[2:3], v[84:85]
	v_fma_f64 v[84:85], v[92:93], s[14:15], v[84:85]
	;; [unrolled: 1-line block ×5, first 2 shown]
	v_add_f64 v[90:91], v[132:133], v[144:145]
	v_fma_f64 v[94:95], v[86:87], s[4:5], v[96:97]
	v_fma_f64 v[134:135], v[86:87], s[4:5], v[84:85]
	v_mul_f64 v[86:87], v[98:99], s[8:9]
	v_mul_f64 v[98:99], v[116:117], s[14:15]
	v_add_f64 v[84:85], v[120:121], v[104:105]
	v_fma_f64 v[136:137], v[112:113], s[20:21], v[86:87]
	v_mul_f64 v[86:87], v[94:95], s[2:3]
	v_fma_f64 v[146:147], v[94:95], s[4:5], v[98:99]
	v_mul_f64 v[98:99], v[134:135], s[22:23]
	v_add_f64 v[88:89], v[126:127], v[136:137]
	v_fma_f64 v[138:139], v[116:117], s[4:5], v[86:87]
	v_mul_f64 v[86:87], v[110:111], s[22:23]
	v_add_f64 v[94:95], v[118:119], v[146:147]
	v_add_f64 v[112:113], v[126:127], -v[136:137]
	v_add_f64 v[118:119], v[118:119], -v[146:147]
	v_add_f64 v[92:93], v[130:131], v[138:139]
	v_fma_f64 v[140:141], v[134:135], s[2:3], v[86:87]
	v_mul_f64 v[86:87], v[108:109], s[24:25]
	v_fma_f64 v[134:135], v[110:111], s[14:15], v[98:99]
	v_add_f64 v[110:111], v[128:129], -v[114:115]
	v_add_f64 v[116:117], v[130:131], -v[138:139]
	v_add_f64 v[96:97], v[124:125], v[140:141]
	v_fma_f64 v[142:143], v[102:103], s[8:9], v[86:87]
	v_mul_f64 v[102:103], v[102:103], s[24:25]
	v_add_f64 v[86:87], v[128:129], v[114:115]
	v_add_f64 v[98:99], v[2:3], v[134:135]
	v_add_f64 v[114:115], v[132:133], -v[144:145]
	v_add_f64 v[100:101], v[122:123], v[142:143]
	v_fma_f64 v[148:149], v[108:109], s[6:7], v[102:103]
	v_add_f64 v[108:109], v[120:121], -v[104:105]
	v_lshlrev_b32_e32 v104, 6, v228
	v_add_f64 v[120:121], v[124:125], -v[140:141]
	v_add_f64 v[124:125], v[122:123], -v[142:143]
	;; [unrolled: 1-line block ×3, first 2 shown]
	v_add_f64 v[102:103], v[0:1], v[148:149]
	v_add_f64 v[126:127], v[0:1], -v[148:149]
	v_mov_b32_e32 v0, 0x2ee
	v_cndmask_b32_e32 v0, 0, v0, vcc
	v_add_lshl_u32 v156, v154, v0, 4
	v_mul_u32_u24_e32 v0, 0x2ee, v155
	v_add_lshl_u32 v157, v0, v157, 4
	v_mad_legacy_u16 v0, v158, s27, v217
	v_lshlrev_b32_e32 v158, 4, v0
	ds_write_b128 v156, v[20:23]
	ds_write_b128 v156, v[16:19] offset:1200
	ds_write_b128 v156, v[12:15] offset:2400
	ds_write_b128 v156, v[8:11] offset:3600
	ds_write_b128 v156, v[4:7] offset:4800
	ds_write_b128 v156, v[44:47] offset:6000
	ds_write_b128 v156, v[40:43] offset:7200
	ds_write_b128 v156, v[32:35] offset:8400
	ds_write_b128 v156, v[28:31] offset:9600
	ds_write_b128 v156, v[24:27] offset:10800
	ds_write_b128 v157, v[60:63]
	ds_write_b128 v157, v[56:59] offset:1200
	ds_write_b128 v157, v[52:55] offset:2400
	ds_write_b128 v157, v[48:51] offset:3600
	ds_write_b128 v157, v[36:39] offset:4800
	ds_write_b128 v157, v[80:83] offset:6000
	ds_write_b128 v157, v[76:79] offset:7200
	ds_write_b128 v157, v[72:75] offset:8400
	ds_write_b128 v157, v[68:71] offset:9600
	ds_write_b128 v157, v[64:67] offset:10800
	;; [unrolled: 10-line block ×3, first 2 shown]
	v_add_co_u32_e32 v112, vcc, s10, v104
	v_addc_co_u32_e32 v113, vcc, 0, v216, vcc
	v_add_co_u32_e32 v104, vcc, s11, v112
	v_addc_co_u32_e32 v105, vcc, 0, v113, vcc
	;; [unrolled: 2-line block ×3, first 2 shown]
	s_waitcnt vmcnt(0) lgkmcnt(0)
	s_barrier
	ds_read_b128 v[20:23], v106
	ds_read_b128 v[8:11], v106 offset:12000
	ds_read_b128 v[12:15], v106 offset:24000
	;; [unrolled: 1-line block ×29, first 2 shown]
	global_load_dwordx4 v[118:121], v[112:113], off offset:3760
	global_load_dwordx4 v[148:151], v[104:105], off offset:48
	;; [unrolled: 1-line block ×4, first 2 shown]
	s_waitcnt vmcnt(3) lgkmcnt(14)
	v_mul_f64 v[104:105], v[10:11], v[120:121]
	v_fma_f64 v[138:139], v[8:9], v[118:119], -v[104:105]
	buffer_store_dword v118, off, s[28:31], 0 offset:1540 ; 4-byte Folded Spill
	s_nop 0
	buffer_store_dword v119, off, s[28:31], 0 offset:1544 ; 4-byte Folded Spill
	buffer_store_dword v120, off, s[28:31], 0 offset:1548 ; 4-byte Folded Spill
	;; [unrolled: 1-line block ×3, first 2 shown]
	s_waitcnt vmcnt(4)
	buffer_store_dword v122, off, s[28:31], 0 offset:1556 ; 4-byte Folded Spill
	s_nop 0
	buffer_store_dword v123, off, s[28:31], 0 offset:1560 ; 4-byte Folded Spill
	buffer_store_dword v124, off, s[28:31], 0 offset:1564 ; 4-byte Folded Spill
	;; [unrolled: 1-line block ×4, first 2 shown]
	s_nop 0
	buffer_store_dword v127, off, s[28:31], 0 offset:1524 ; 4-byte Folded Spill
	buffer_store_dword v128, off, s[28:31], 0 offset:1528 ; 4-byte Folded Spill
	buffer_store_dword v129, off, s[28:31], 0 offset:1532 ; 4-byte Folded Spill
	v_mul_f64 v[8:9], v[8:9], v[120:121]
	v_fma_f64 v[120:121], v[10:11], v[118:119], v[8:9]
	v_mul_f64 v[8:9], v[14:15], v[124:125]
	v_fma_f64 v[142:143], v[12:13], v[122:123], -v[8:9]
	v_mul_f64 v[8:9], v[12:13], v[124:125]
	v_mov_b32_e32 v10, v148
	v_mov_b32_e32 v11, v149
	;; [unrolled: 1-line block ×4, first 2 shown]
	buffer_store_dword v10, off, s[28:31], 0 offset:1488 ; 4-byte Folded Spill
	s_nop 0
	buffer_store_dword v11, off, s[28:31], 0 offset:1492 ; 4-byte Folded Spill
	buffer_store_dword v12, off, s[28:31], 0 offset:1496 ; 4-byte Folded Spill
	;; [unrolled: 1-line block ×3, first 2 shown]
	v_fma_f64 v[124:125], v[14:15], v[122:123], v[8:9]
	v_mul_f64 v[8:9], v[94:95], v[128:129]
	v_fma_f64 v[146:147], v[92:93], v[126:127], -v[8:9]
	v_mul_f64 v[8:9], v[92:93], v[128:129]
	v_fma_f64 v[126:127], v[94:95], v[126:127], v[8:9]
	v_mul_f64 v[8:9], v[98:99], v[12:13]
	v_fma_f64 v[150:151], v[96:97], v[10:11], -v[8:9]
	v_mul_f64 v[8:9], v[96:97], v[12:13]
	v_fma_f64 v[128:129], v[98:99], v[10:11], v[8:9]
	v_lshlrev_b32_e32 v8, 6, v107
	v_add_co_u32_e32 v10, vcc, s10, v8
	v_addc_co_u32_e32 v11, vcc, 0, v216, vcc
	v_add_co_u32_e32 v8, vcc, s11, v10
	v_addc_co_u32_e32 v9, vcc, 0, v11, vcc
	;; [unrolled: 2-line block ×3, first 2 shown]
	global_load_dwordx4 v[92:95], v[10:11], off offset:3760
	s_waitcnt vmcnt(0)
	buffer_store_dword v92, off, s[28:31], 0 offset:1620 ; 4-byte Folded Spill
	s_nop 0
	buffer_store_dword v93, off, s[28:31], 0 offset:1624 ; 4-byte Folded Spill
	buffer_store_dword v94, off, s[28:31], 0 offset:1628 ; 4-byte Folded Spill
	;; [unrolled: 1-line block ×3, first 2 shown]
	global_load_dwordx4 v[12:15], v[8:9], off offset:48
	global_load_dwordx4 v[96:99], v[8:9], off offset:32
	;; [unrolled: 1-line block ×3, first 2 shown]
	s_waitcnt vmcnt(0)
	buffer_store_dword v152, off, s[28:31], 0 offset:1604 ; 4-byte Folded Spill
	s_nop 0
	buffer_store_dword v153, off, s[28:31], 0 offset:1608 ; 4-byte Folded Spill
	buffer_store_dword v154, off, s[28:31], 0 offset:1612 ; 4-byte Folded Spill
	;; [unrolled: 1-line block ×4, first 2 shown]
	s_nop 0
	buffer_store_dword v97, off, s[28:31], 0 offset:1592 ; 4-byte Folded Spill
	buffer_store_dword v98, off, s[28:31], 0 offset:1596 ; 4-byte Folded Spill
	;; [unrolled: 1-line block ×3, first 2 shown]
	v_mul_f64 v[8:9], v[110:111], v[94:95]
	v_fma_f64 v[122:123], v[108:109], v[92:93], -v[8:9]
	v_mul_f64 v[8:9], v[108:109], v[94:95]
	v_fma_f64 v[94:95], v[110:111], v[92:93], v[8:9]
	v_mul_f64 v[8:9], v[132:133], v[154:155]
	v_fma_f64 v[112:113], v[130:131], v[152:153], -v[8:9]
	v_mul_f64 v[8:9], v[130:131], v[154:155]
	v_fma_f64 v[92:93], v[132:133], v[152:153], v[8:9]
	;; [unrolled: 4-line block ×3, first 2 shown]
	v_mov_b32_e32 v99, v15
	v_mov_b32_e32 v98, v14
	;; [unrolled: 1-line block ×4, first 2 shown]
	buffer_store_dword v96, off, s[28:31], 0 offset:1572 ; 4-byte Folded Spill
	s_nop 0
	buffer_store_dword v97, off, s[28:31], 0 offset:1576 ; 4-byte Folded Spill
	buffer_store_dword v98, off, s[28:31], 0 offset:1580 ; 4-byte Folded Spill
	;; [unrolled: 1-line block ×3, first 2 shown]
	v_mul_f64 v[8:9], v[90:91], v[14:15]
	v_lshlrev_b32_e32 v14, 6, v180
	v_fma_f64 v[8:9], v[88:89], v[12:13], -v[8:9]
	v_mul_f64 v[12:13], v[88:89], v[98:99]
	v_add_co_u32_e32 v88, vcc, s10, v14
	v_addc_co_u32_e32 v89, vcc, 0, v216, vcc
	v_add_co_u32_e32 v14, vcc, s11, v88
	v_addc_co_u32_e32 v15, vcc, 0, v89, vcc
	;; [unrolled: 2-line block ×3, first 2 shown]
	v_fma_f64 v[12:13], v[90:91], v[96:97], v[12:13]
	global_load_dwordx4 v[134:137], v[88:89], off offset:3760
	s_nop 0
	global_load_dwordx4 v[88:91], v[14:15], off offset:48
	global_load_dwordx4 v[96:99], v[14:15], off offset:32
	;; [unrolled: 1-line block ×3, first 2 shown]
	s_waitcnt vmcnt(3)
	buffer_store_dword v134, off, s[28:31], 0 offset:1688 ; 4-byte Folded Spill
	s_nop 0
	buffer_store_dword v135, off, s[28:31], 0 offset:1692 ; 4-byte Folded Spill
	buffer_store_dword v136, off, s[28:31], 0 offset:1696 ; 4-byte Folded Spill
	buffer_store_dword v137, off, s[28:31], 0 offset:1700 ; 4-byte Folded Spill
	s_waitcnt vmcnt(4)
	buffer_store_dword v130, off, s[28:31], 0 offset:1672 ; 4-byte Folded Spill
	s_nop 0
	buffer_store_dword v131, off, s[28:31], 0 offset:1676 ; 4-byte Folded Spill
	buffer_store_dword v132, off, s[28:31], 0 offset:1680 ; 4-byte Folded Spill
	;; [unrolled: 1-line block ×4, first 2 shown]
	s_nop 0
	buffer_store_dword v97, off, s[28:31], 0 offset:1660 ; 4-byte Folded Spill
	buffer_store_dword v98, off, s[28:31], 0 offset:1664 ; 4-byte Folded Spill
	;; [unrolled: 1-line block ×3, first 2 shown]
	v_mul_f64 v[14:15], v[86:87], v[136:137]
	v_fma_f64 v[104:105], v[84:85], v[134:135], -v[14:15]
	v_mul_f64 v[14:15], v[84:85], v[136:137]
	v_fma_f64 v[86:87], v[86:87], v[134:135], v[14:15]
	v_mul_f64 v[14:15], v[82:83], v[132:133]
	v_fma_f64 v[84:85], v[80:81], v[130:131], -v[14:15]
	v_mul_f64 v[14:15], v[80:81], v[132:133]
	v_fma_f64 v[82:83], v[82:83], v[130:131], v[14:15]
	;; [unrolled: 4-line block ×3, first 2 shown]
	v_mul_f64 v[14:15], v[74:75], v[90:91]
	v_fma_f64 v[14:15], v[72:73], v[88:89], -v[14:15]
	buffer_store_dword v88, off, s[28:31], 0 offset:1636 ; 4-byte Folded Spill
	s_nop 0
	buffer_store_dword v89, off, s[28:31], 0 offset:1640 ; 4-byte Folded Spill
	buffer_store_dword v90, off, s[28:31], 0 offset:1644 ; 4-byte Folded Spill
	;; [unrolled: 1-line block ×3, first 2 shown]
	v_mul_f64 v[72:73], v[72:73], v[90:91]
	v_fma_f64 v[72:73], v[74:75], v[88:89], v[72:73]
	v_lshlrev_b32_e32 v74, 6, v181
	v_add_co_u32_e32 v78, vcc, s10, v74
	v_addc_co_u32_e32 v79, vcc, 0, v216, vcc
	v_add_co_u32_e32 v74, vcc, s11, v78
	v_addc_co_u32_e32 v75, vcc, 0, v79, vcc
	;; [unrolled: 2-line block ×3, first 2 shown]
	global_load_dwordx4 v[134:137], v[78:79], off offset:3760
	global_load_dwordx4 v[130:133], v[74:75], off offset:48
	;; [unrolled: 1-line block ×4, first 2 shown]
	s_waitcnt vmcnt(3) lgkmcnt(13)
	v_mul_f64 v[74:75], v[70:71], v[136:137]
	v_fma_f64 v[78:79], v[68:69], v[134:135], -v[74:75]
	buffer_store_dword v134, off, s[28:31], 0 offset:1752 ; 4-byte Folded Spill
	s_nop 0
	buffer_store_dword v135, off, s[28:31], 0 offset:1756 ; 4-byte Folded Spill
	buffer_store_dword v136, off, s[28:31], 0 offset:1760 ; 4-byte Folded Spill
	;; [unrolled: 1-line block ×3, first 2 shown]
	s_waitcnt vmcnt(4)
	buffer_store_dword v88, off, s[28:31], 0 offset:1736 ; 4-byte Folded Spill
	s_nop 0
	buffer_store_dword v89, off, s[28:31], 0 offset:1740 ; 4-byte Folded Spill
	buffer_store_dword v90, off, s[28:31], 0 offset:1744 ; 4-byte Folded Spill
	;; [unrolled: 1-line block ×3, first 2 shown]
	v_mul_f64 v[68:69], v[68:69], v[136:137]
	v_fma_f64 v[70:71], v[70:71], v[134:135], v[68:69]
	v_mov_b32_e32 v137, v99
	v_mov_b32_e32 v136, v98
	;; [unrolled: 1-line block ×4, first 2 shown]
	buffer_store_dword v134, off, s[28:31], 0 offset:1720 ; 4-byte Folded Spill
	s_nop 0
	buffer_store_dword v135, off, s[28:31], 0 offset:1724 ; 4-byte Folded Spill
	buffer_store_dword v136, off, s[28:31], 0 offset:1728 ; 4-byte Folded Spill
	;; [unrolled: 1-line block ×4, first 2 shown]
	s_nop 0
	buffer_store_dword v131, off, s[28:31], 0 offset:1708 ; 4-byte Folded Spill
	buffer_store_dword v132, off, s[28:31], 0 offset:1712 ; 4-byte Folded Spill
	;; [unrolled: 1-line block ×3, first 2 shown]
	s_waitcnt lgkmcnt(12)
	v_mul_f64 v[68:69], v[66:67], v[90:91]
	v_fma_f64 v[68:69], v[64:65], v[88:89], -v[68:69]
	v_mul_f64 v[64:65], v[64:65], v[90:91]
	v_fma_f64 v[88:89], v[66:67], v[88:89], v[64:65]
	s_waitcnt lgkmcnt(11)
	v_mul_f64 v[64:65], v[62:63], v[136:137]
	v_fma_f64 v[96:97], v[60:61], v[134:135], -v[64:65]
	v_mul_f64 v[60:61], v[60:61], v[136:137]
	v_fma_f64 v[90:91], v[62:63], v[134:135], v[60:61]
	;; [unrolled: 5-line block ×3, first 2 shown]
	v_lshlrev_b32_e32 v58, 6, v182
	v_add_co_u32_e32 v62, vcc, s10, v58
	v_addc_co_u32_e32 v63, vcc, 0, v216, vcc
	v_add_co_u32_e32 v58, vcc, s11, v62
	v_addc_co_u32_e32 v59, vcc, 0, v63, vcc
	;; [unrolled: 2-line block ×3, first 2 shown]
	global_load_dwordx4 v[236:239], v[62:63], off offset:3760
	s_nop 0
	global_load_dwordx4 v[62:65], v[58:59], off offset:48
	global_load_dwordx4 v[252:255], v[58:59], off offset:32
	;; [unrolled: 1-line block ×3, first 2 shown]
	s_waitcnt vmcnt(2)
	buffer_store_dword v62, off, s[28:31], 0 offset:1768 ; 4-byte Folded Spill
	s_nop 0
	buffer_store_dword v63, off, s[28:31], 0 offset:1772 ; 4-byte Folded Spill
	buffer_store_dword v64, off, s[28:31], 0 offset:1776 ; 4-byte Folded Spill
	;; [unrolled: 1-line block ×3, first 2 shown]
	s_waitcnt lgkmcnt(8)
	v_mul_f64 v[58:59], v[54:55], v[238:239]
	v_fma_f64 v[58:59], v[52:53], v[236:237], -v[58:59]
	v_mul_f64 v[52:53], v[52:53], v[238:239]
	v_fma_f64 v[107:108], v[54:55], v[236:237], v[52:53]
	s_waitcnt vmcnt(4) lgkmcnt(7)
	v_mul_f64 v[52:53], v[50:51], v[242:243]
	v_fma_f64 v[98:99], v[48:49], v[240:241], -v[52:53]
	v_mul_f64 v[48:49], v[48:49], v[242:243]
	v_fma_f64 v[52:53], v[50:51], v[240:241], v[48:49]
	s_waitcnt lgkmcnt(6)
	v_mul_f64 v[48:49], v[46:47], v[254:255]
	v_fma_f64 v[48:49], v[44:45], v[252:253], -v[48:49]
	v_mul_f64 v[44:45], v[44:45], v[254:255]
	v_fma_f64 v[44:45], v[46:47], v[252:253], v[44:45]
	s_waitcnt lgkmcnt(5)
	v_mul_f64 v[46:47], v[42:43], v[64:65]
	v_fma_f64 v[54:55], v[40:41], v[62:63], -v[46:47]
	v_mul_f64 v[40:41], v[40:41], v[64:65]
	v_add_f64 v[64:65], v[150:151], -v[146:147]
	v_fma_f64 v[46:47], v[42:43], v[62:63], v[40:41]
	v_lshlrev_b32_e32 v40, 6, v183
	v_add_co_u32_e32 v42, vcc, s10, v40
	v_addc_co_u32_e32 v43, vcc, 0, v216, vcc
	v_add_co_u32_e32 v40, vcc, s11, v42
	v_addc_co_u32_e32 v41, vcc, 0, v43, vcc
	;; [unrolled: 2-line block ×3, first 2 shown]
	global_load_dwordx4 v[180:183], v[42:43], off offset:3760
	global_load_dwordx4 v[228:231], v[40:41], off offset:48
	;; [unrolled: 1-line block ×4, first 2 shown]
	s_mov_b32 s10, 0xea60
	s_waitcnt vmcnt(3) lgkmcnt(3)
	v_mul_f64 v[40:41], v[38:39], v[182:183]
	v_fma_f64 v[40:41], v[36:37], v[180:181], -v[40:41]
	v_mul_f64 v[36:37], v[36:37], v[182:183]
	v_fma_f64 v[62:63], v[38:39], v[180:181], v[36:37]
	s_waitcnt vmcnt(0) lgkmcnt(2)
	v_mul_f64 v[36:37], v[34:35], v[218:219]
	v_fma_f64 v[38:39], v[32:33], v[216:217], -v[36:37]
	v_mul_f64 v[32:33], v[32:33], v[218:219]
	v_add_f64 v[36:37], v[138:139], -v[142:143]
	v_fma_f64 v[42:43], v[34:35], v[216:217], v[32:33]
	s_waitcnt lgkmcnt(1)
	v_mul_f64 v[32:33], v[30:31], v[222:223]
	v_add_f64 v[34:35], v[124:125], -v[126:127]
	v_add_f64 v[36:37], v[36:37], v[64:65]
	v_fma_f64 v[118:119], v[28:29], v[220:221], -v[32:33]
	v_mul_f64 v[28:29], v[28:29], v[222:223]
	v_fma_f64 v[28:29], v[30:31], v[220:221], v[28:29]
	s_waitcnt lgkmcnt(0)
	v_mul_f64 v[30:31], v[26:27], v[230:231]
	v_fma_f64 v[50:51], v[24:25], v[228:229], -v[30:31]
	v_mul_f64 v[24:25], v[24:25], v[230:231]
	v_add_f64 v[30:31], v[120:121], -v[128:129]
	v_fma_f64 v[24:25], v[26:27], v[228:229], v[24:25]
	v_add_f64 v[26:27], v[20:21], v[138:139]
	v_add_f64 v[26:27], v[26:27], v[142:143]
	;; [unrolled: 1-line block ×5, first 2 shown]
	v_fma_f64 v[26:27], v[26:27], -0.5, v[20:21]
	v_fma_f64 v[32:33], v[30:31], s[2:3], v[26:27]
	v_fma_f64 v[26:27], v[30:31], s[14:15], v[26:27]
	;; [unrolled: 1-line block ×6, first 2 shown]
	v_add_f64 v[26:27], v[138:139], v[150:151]
	v_add_f64 v[32:33], v[142:143], -v[138:139]
	v_add_f64 v[36:37], v[146:147], -v[150:151]
	v_fma_f64 v[20:21], v[26:27], -0.5, v[20:21]
	v_add_f64 v[32:33], v[32:33], v[36:37]
	v_add_f64 v[36:37], v[128:129], -v[126:127]
	v_fma_f64 v[26:27], v[34:35], s[14:15], v[20:21]
	v_fma_f64 v[20:21], v[34:35], s[2:3], v[20:21]
	v_add_f64 v[34:35], v[120:121], -v[124:125]
	v_fma_f64 v[26:27], v[30:31], s[8:9], v[26:27]
	v_fma_f64 v[20:21], v[30:31], s[6:7], v[20:21]
	v_add_f64 v[34:35], v[34:35], v[36:37]
	v_fma_f64 v[136:137], v[32:33], s[4:5], v[26:27]
	v_fma_f64 v[140:141], v[32:33], s[4:5], v[20:21]
	v_add_f64 v[20:21], v[22:23], v[120:121]
	v_add_f64 v[26:27], v[138:139], -v[150:151]
	v_add_f64 v[32:33], v[142:143], -v[146:147]
	v_add_f64 v[20:21], v[20:21], v[124:125]
	v_add_f64 v[20:21], v[20:21], v[126:127]
	;; [unrolled: 1-line block ×4, first 2 shown]
	v_fma_f64 v[20:21], v[20:21], -0.5, v[22:23]
	v_fma_f64 v[30:31], v[26:27], s[14:15], v[20:21]
	v_fma_f64 v[20:21], v[26:27], s[2:3], v[20:21]
	;; [unrolled: 1-line block ×6, first 2 shown]
	v_add_f64 v[20:21], v[120:121], v[128:129]
	v_add_f64 v[30:31], v[124:125], -v[120:121]
	v_add_f64 v[34:35], v[126:127], -v[128:129]
	v_fma_f64 v[20:21], v[20:21], -0.5, v[22:23]
	v_add_f64 v[30:31], v[30:31], v[34:35]
	v_add_f64 v[34:35], v[8:9], -v[10:11]
	v_fma_f64 v[22:23], v[32:33], s[2:3], v[20:21]
	v_fma_f64 v[20:21], v[32:33], s[14:15], v[20:21]
	v_add_f64 v[32:33], v[122:123], -v[112:113]
	v_fma_f64 v[22:23], v[26:27], s[6:7], v[22:23]
	v_fma_f64 v[20:21], v[26:27], s[8:9], v[20:21]
	v_add_f64 v[32:33], v[32:33], v[34:35]
	v_fma_f64 v[138:139], v[30:31], s[4:5], v[22:23]
	v_fma_f64 v[142:143], v[30:31], s[4:5], v[20:21]
	v_add_f64 v[20:21], v[0:1], v[122:123]
	v_add_f64 v[22:23], v[94:95], -v[12:13]
	v_add_f64 v[30:31], v[92:93], -v[110:111]
	v_add_f64 v[20:21], v[20:21], v[112:113]
	v_add_f64 v[20:21], v[20:21], v[10:11]
	;; [unrolled: 1-line block ×4, first 2 shown]
	v_fma_f64 v[20:21], v[20:21], -0.5, v[0:1]
	v_fma_f64 v[26:27], v[22:23], s[2:3], v[20:21]
	v_fma_f64 v[20:21], v[22:23], s[14:15], v[20:21]
	v_fma_f64 v[26:27], v[30:31], s[8:9], v[26:27]
	v_fma_f64 v[20:21], v[30:31], s[6:7], v[20:21]
	v_fma_f64 v[128:129], v[32:33], s[4:5], v[26:27]
	v_fma_f64 v[120:121], v[32:33], s[4:5], v[20:21]
	v_add_f64 v[20:21], v[122:123], v[8:9]
	v_add_f64 v[26:27], v[112:113], -v[122:123]
	v_add_f64 v[32:33], v[10:11], -v[8:9]
	;; [unrolled: 1-line block ×4, first 2 shown]
	v_fma_f64 v[0:1], v[20:21], -0.5, v[0:1]
	v_add_f64 v[26:27], v[26:27], v[32:33]
	v_fma_f64 v[20:21], v[30:31], s[14:15], v[0:1]
	v_fma_f64 v[0:1], v[30:31], s[2:3], v[0:1]
	;; [unrolled: 1-line block ×4, first 2 shown]
	v_add_f64 v[22:23], v[94:95], -v[92:93]
	v_fma_f64 v[34:35], v[26:27], s[4:5], v[20:21]
	v_fma_f64 v[124:125], v[26:27], s[4:5], v[0:1]
	v_add_f64 v[0:1], v[2:3], v[94:95]
	v_add_f64 v[26:27], v[12:13], -v[110:111]
	v_add_f64 v[0:1], v[0:1], v[92:93]
	v_add_f64 v[22:23], v[22:23], v[26:27]
	v_add_f64 v[26:27], v[107:108], -v[52:53]
	v_add_f64 v[0:1], v[0:1], v[110:111]
	v_add_f64 v[134:135], v[0:1], v[12:13]
	;; [unrolled: 1-line block ×3, first 2 shown]
	v_fma_f64 v[0:1], v[0:1], -0.5, v[2:3]
	v_fma_f64 v[20:21], v[8:9], s[14:15], v[0:1]
	v_fma_f64 v[0:1], v[8:9], s[2:3], v[0:1]
	;; [unrolled: 1-line block ×6, first 2 shown]
	v_add_f64 v[0:1], v[94:95], v[12:13]
	v_add_f64 v[20:21], v[92:93], -v[94:95]
	v_add_f64 v[12:13], v[110:111], -v[12:13]
	v_fma_f64 v[0:1], v[0:1], -0.5, v[2:3]
	v_add_f64 v[12:13], v[20:21], v[12:13]
	v_add_f64 v[20:21], v[14:15], -v[80:81]
	v_fma_f64 v[2:3], v[10:11], s[2:3], v[0:1]
	v_fma_f64 v[0:1], v[10:11], s[14:15], v[0:1]
	v_add_f64 v[10:11], v[82:83], -v[76:77]
	v_fma_f64 v[2:3], v[8:9], s[6:7], v[2:3]
	v_fma_f64 v[0:1], v[8:9], s[8:9], v[0:1]
	;; [unrolled: 1-line block ×4, first 2 shown]
	v_add_f64 v[0:1], v[4:5], v[104:105]
	v_add_f64 v[2:3], v[86:87], -v[72:73]
	v_add_f64 v[12:13], v[104:105], -v[84:85]
	v_add_f64 v[0:1], v[0:1], v[84:85]
	v_add_f64 v[12:13], v[12:13], v[20:21]
	;; [unrolled: 1-line block ×5, first 2 shown]
	v_fma_f64 v[0:1], v[0:1], -0.5, v[4:5]
	v_fma_f64 v[8:9], v[2:3], s[2:3], v[0:1]
	v_fma_f64 v[0:1], v[2:3], s[14:15], v[0:1]
	v_fma_f64 v[8:9], v[10:11], s[8:9], v[8:9]
	v_fma_f64 v[0:1], v[10:11], s[6:7], v[0:1]
	v_fma_f64 v[64:65], v[12:13], s[4:5], v[8:9]
	v_fma_f64 v[20:21], v[12:13], s[4:5], v[0:1]
	v_add_f64 v[0:1], v[104:105], v[14:15]
	v_add_f64 v[8:9], v[84:85], -v[104:105]
	v_add_f64 v[12:13], v[80:81], -v[14:15]
	v_fma_f64 v[0:1], v[0:1], -0.5, v[4:5]
	v_add_f64 v[8:9], v[8:9], v[12:13]
	v_add_f64 v[12:13], v[86:87], -v[82:83]
	v_fma_f64 v[4:5], v[10:11], s[14:15], v[0:1]
	v_fma_f64 v[0:1], v[10:11], s[2:3], v[0:1]
	v_add_f64 v[10:11], v[84:85], -v[80:81]
	v_fma_f64 v[4:5], v[2:3], s[8:9], v[4:5]
	v_fma_f64 v[0:1], v[2:3], s[6:7], v[0:1]
	v_add_f64 v[2:3], v[104:105], -v[14:15]
	v_add_f64 v[14:15], v[72:73], -v[76:77]
	v_fma_f64 v[110:111], v[8:9], s[4:5], v[4:5]
	v_fma_f64 v[4:5], v[8:9], s[4:5], v[0:1]
	v_add_f64 v[0:1], v[6:7], v[86:87]
	v_add_f64 v[12:13], v[12:13], v[14:15]
	v_add_f64 v[14:15], v[60:61], -v[96:97]
	v_add_f64 v[0:1], v[0:1], v[82:83]
	v_add_f64 v[0:1], v[0:1], v[76:77]
	;; [unrolled: 1-line block ×4, first 2 shown]
	v_fma_f64 v[0:1], v[0:1], -0.5, v[6:7]
	v_fma_f64 v[8:9], v[2:3], s[14:15], v[0:1]
	v_fma_f64 v[0:1], v[2:3], s[2:3], v[0:1]
	;; [unrolled: 1-line block ×6, first 2 shown]
	v_add_f64 v[0:1], v[86:87], v[72:73]
	v_add_f64 v[8:9], v[82:83], -v[86:87]
	v_add_f64 v[12:13], v[76:77], -v[72:73]
	v_fma_f64 v[0:1], v[0:1], -0.5, v[6:7]
	v_add_f64 v[8:9], v[8:9], v[12:13]
	v_add_f64 v[12:13], v[78:79], -v[68:69]
	v_fma_f64 v[6:7], v[10:11], s[2:3], v[0:1]
	v_fma_f64 v[0:1], v[10:11], s[14:15], v[0:1]
	v_add_f64 v[10:11], v[88:89], -v[90:91]
	v_add_f64 v[12:13], v[12:13], v[14:15]
	v_add_f64 v[14:15], v[96:97], -v[60:61]
	v_fma_f64 v[6:7], v[2:3], s[6:7], v[6:7]
	v_fma_f64 v[0:1], v[2:3], s[8:9], v[0:1]
	v_add_f64 v[2:3], v[70:71], -v[56:57]
	v_fma_f64 v[112:113], v[8:9], s[4:5], v[6:7]
	v_fma_f64 v[6:7], v[8:9], s[4:5], v[0:1]
	v_add_f64 v[0:1], v[16:17], v[78:79]
	v_add_f64 v[0:1], v[0:1], v[68:69]
	v_add_f64 v[0:1], v[0:1], v[96:97]
	v_add_f64 v[72:73], v[0:1], v[60:61]
	v_add_f64 v[0:1], v[68:69], v[96:97]
	v_fma_f64 v[0:1], v[0:1], -0.5, v[16:17]
	v_fma_f64 v[8:9], v[2:3], s[2:3], v[0:1]
	v_fma_f64 v[0:1], v[2:3], s[14:15], v[0:1]
	;; [unrolled: 1-line block ×6, first 2 shown]
	v_add_f64 v[0:1], v[78:79], v[60:61]
	v_add_f64 v[12:13], v[68:69], -v[78:79]
	v_fma_f64 v[0:1], v[0:1], -0.5, v[16:17]
	v_add_f64 v[12:13], v[12:13], v[14:15]
	v_add_f64 v[14:15], v[70:71], -v[88:89]
	v_add_f64 v[16:17], v[56:57], -v[90:91]
	v_fma_f64 v[8:9], v[10:11], s[14:15], v[0:1]
	v_fma_f64 v[0:1], v[10:11], s[2:3], v[0:1]
	v_add_f64 v[14:15], v[14:15], v[16:17]
	v_add_f64 v[16:17], v[90:91], -v[56:57]
	v_fma_f64 v[8:9], v[2:3], s[8:9], v[8:9]
	v_fma_f64 v[0:1], v[2:3], s[6:7], v[0:1]
	v_add_f64 v[2:3], v[78:79], -v[60:61]
	v_fma_f64 v[84:85], v[12:13], s[4:5], v[8:9]
	v_fma_f64 v[8:9], v[12:13], s[4:5], v[0:1]
	v_add_f64 v[0:1], v[18:19], v[70:71]
	v_add_f64 v[12:13], v[68:69], -v[96:97]
	v_add_f64 v[0:1], v[0:1], v[88:89]
	v_add_f64 v[0:1], v[0:1], v[90:91]
	v_add_f64 v[74:75], v[0:1], v[56:57]
	v_add_f64 v[0:1], v[88:89], v[90:91]
	v_fma_f64 v[0:1], v[0:1], -0.5, v[18:19]
	v_fma_f64 v[10:11], v[2:3], s[14:15], v[0:1]
	v_fma_f64 v[0:1], v[2:3], s[2:3], v[0:1]
	;; [unrolled: 1-line block ×6, first 2 shown]
	v_add_f64 v[0:1], v[70:71], v[56:57]
	v_add_f64 v[14:15], v[88:89], -v[70:71]
	v_add_f64 v[56:57], v[118:119], -v[50:51]
	v_fma_f64 v[0:1], v[0:1], -0.5, v[18:19]
	v_add_f64 v[14:15], v[14:15], v[16:17]
	v_add_f64 v[16:17], v[58:59], -v[98:99]
	v_add_f64 v[18:19], v[54:55], -v[48:49]
	v_fma_f64 v[10:11], v[12:13], s[2:3], v[0:1]
	v_fma_f64 v[0:1], v[12:13], s[14:15], v[0:1]
	v_add_f64 v[16:17], v[16:17], v[18:19]
	v_add_f64 v[18:19], v[48:49], -v[54:55]
	v_fma_f64 v[10:11], v[2:3], s[6:7], v[10:11]
	v_fma_f64 v[0:1], v[2:3], s[8:9], v[0:1]
	v_add_f64 v[2:3], v[107:108], -v[46:47]
	v_fma_f64 v[86:87], v[14:15], s[4:5], v[10:11]
	v_fma_f64 v[10:11], v[14:15], s[4:5], v[0:1]
	v_add_f64 v[0:1], v[114:115], v[58:59]
	v_add_f64 v[14:15], v[52:53], -v[44:45]
	v_add_f64 v[0:1], v[0:1], v[98:99]
	v_add_f64 v[0:1], v[0:1], v[48:49]
	;; [unrolled: 1-line block ×4, first 2 shown]
	v_fma_f64 v[0:1], v[0:1], -0.5, v[114:115]
	v_fma_f64 v[12:13], v[2:3], s[2:3], v[0:1]
	v_fma_f64 v[0:1], v[2:3], s[14:15], v[0:1]
	;; [unrolled: 1-line block ×6, first 2 shown]
	v_add_f64 v[0:1], v[58:59], v[54:55]
	v_add_f64 v[16:17], v[98:99], -v[58:59]
	v_fma_f64 v[12:13], v[0:1], -0.5, v[114:115]
	v_add_f64 v[16:17], v[16:17], v[18:19]
	v_add_f64 v[18:19], v[98:99], -v[48:49]
	v_add_f64 v[48:49], v[46:47], -v[44:45]
	v_fma_f64 v[0:1], v[14:15], s[14:15], v[12:13]
	v_fma_f64 v[12:13], v[14:15], s[2:3], v[12:13]
	v_add_f64 v[14:15], v[58:59], -v[54:55]
	v_add_f64 v[26:27], v[26:27], v[48:49]
	v_add_f64 v[48:49], v[50:51], -v[118:119]
	v_add_f64 v[54:55], v[38:39], -v[40:41]
	v_fma_f64 v[0:1], v[2:3], s[8:9], v[0:1]
	v_fma_f64 v[2:3], v[2:3], s[6:7], v[12:13]
	v_add_f64 v[54:55], v[54:55], v[56:57]
	v_add_f64 v[56:57], v[24:25], -v[28:29]
	v_fma_f64 v[0:1], v[16:17], s[4:5], v[0:1]
	v_fma_f64 v[12:13], v[16:17], s[4:5], v[2:3]
	v_add_f64 v[2:3], v[116:117], v[107:108]
	v_add_f64 v[2:3], v[2:3], v[52:53]
	;; [unrolled: 1-line block ×5, first 2 shown]
	v_add_f64 v[44:45], v[44:45], -v[46:47]
	v_fma_f64 v[2:3], v[2:3], -0.5, v[116:117]
	v_fma_f64 v[16:17], v[14:15], s[14:15], v[2:3]
	v_fma_f64 v[2:3], v[14:15], s[2:3], v[2:3]
	;; [unrolled: 1-line block ×6, first 2 shown]
	v_add_f64 v[2:3], v[107:108], v[46:47]
	v_add_f64 v[26:27], v[52:53], -v[107:108]
	v_add_f64 v[46:47], v[62:63], -v[24:25]
	;; [unrolled: 1-line block ×3, first 2 shown]
	v_fma_f64 v[16:17], v[2:3], -0.5, v[116:117]
	v_add_f64 v[26:27], v[26:27], v[44:45]
	v_add_f64 v[44:45], v[40:41], -v[38:39]
	v_fma_f64 v[2:3], v[18:19], s[2:3], v[16:17]
	v_fma_f64 v[16:17], v[18:19], s[14:15], v[16:17]
	v_add_f64 v[18:19], v[38:39], v[118:119]
	v_add_f64 v[48:49], v[44:45], v[48:49]
	v_fma_f64 v[2:3], v[14:15], s[6:7], v[2:3]
	v_fma_f64 v[14:15], v[14:15], s[8:9], v[16:17]
	v_fma_f64 v[18:19], v[18:19], -0.5, v[100:101]
	v_add_f64 v[16:17], v[100:101], v[40:41]
	v_fma_f64 v[2:3], v[26:27], s[4:5], v[2:3]
	v_fma_f64 v[14:15], v[26:27], s[4:5], v[14:15]
	;; [unrolled: 1-line block ×4, first 2 shown]
	v_add_f64 v[16:17], v[16:17], v[38:39]
	v_add_f64 v[38:39], v[38:39], -v[118:119]
	v_fma_f64 v[26:27], v[52:53], s[8:9], v[26:27]
	v_fma_f64 v[18:19], v[52:53], s[6:7], v[18:19]
	v_add_f64 v[16:17], v[16:17], v[118:119]
	v_fma_f64 v[44:45], v[48:49], s[4:5], v[26:27]
	v_fma_f64 v[48:49], v[48:49], s[4:5], v[18:19]
	v_add_f64 v[18:19], v[40:41], v[50:51]
	v_add_f64 v[40:41], v[40:41], -v[50:51]
	v_add_f64 v[16:17], v[16:17], v[50:51]
	v_add_f64 v[50:51], v[62:63], -v[42:43]
	v_fma_f64 v[18:19], v[18:19], -0.5, v[100:101]
	v_add_f64 v[50:51], v[50:51], v[56:57]
	v_fma_f64 v[26:27], v[52:53], s[14:15], v[18:19]
	v_fma_f64 v[18:19], v[52:53], s[2:3], v[18:19]
	;; [unrolled: 1-line block ×4, first 2 shown]
	v_add_f64 v[46:47], v[42:43], v[28:29]
	v_fma_f64 v[26:27], v[54:55], s[4:5], v[26:27]
	v_fma_f64 v[52:53], v[54:55], s[4:5], v[18:19]
	v_fma_f64 v[54:55], v[46:47], -0.5, v[102:103]
	v_add_f64 v[18:19], v[102:103], v[62:63]
	v_fma_f64 v[46:47], v[40:41], s[14:15], v[54:55]
	v_fma_f64 v[54:55], v[40:41], s[2:3], v[54:55]
	v_add_f64 v[18:19], v[18:19], v[42:43]
	v_add_f64 v[42:43], v[42:43], -v[62:63]
	v_fma_f64 v[46:47], v[38:39], s[6:7], v[46:47]
	v_fma_f64 v[54:55], v[38:39], s[8:9], v[54:55]
	v_add_f64 v[18:19], v[18:19], v[28:29]
	v_fma_f64 v[46:47], v[50:51], s[4:5], v[46:47]
	v_fma_f64 v[50:51], v[50:51], s[4:5], v[54:55]
	v_add_f64 v[54:55], v[62:63], v[24:25]
	v_add_f64 v[18:19], v[18:19], v[24:25]
	v_add_f64 v[24:25], v[28:29], -v[24:25]
	v_fma_f64 v[54:55], v[54:55], -0.5, v[102:103]
	v_add_f64 v[24:25], v[42:43], v[24:25]
	v_fma_f64 v[56:57], v[38:39], s[2:3], v[54:55]
	v_fma_f64 v[38:39], v[38:39], s[14:15], v[54:55]
	;; [unrolled: 1-line block ×6, first 2 shown]
	ds_write_b128 v106, v[152:155]
	ds_write_b128 v106, v[144:147] offset:12000
	ds_write_b128 v106, v[136:139] offset:24000
	;; [unrolled: 1-line block ×29, first 2 shown]
	s_waitcnt lgkmcnt(0)
	s_barrier
	ds_read_b128 v[0:3], v106
	buffer_load_dword v4, off, s[28:31], 0 offset:1784 ; 4-byte Folded Reload
	buffer_load_dword v5, off, s[28:31], 0 offset:1788 ; 4-byte Folded Reload
	v_add_co_u32_e32 v12, vcc, s10, v170
	v_addc_co_u32_e32 v13, vcc, 0, v171, vcc
	s_mov_b32 s10, 0x13000
	v_add_co_u32_e32 v14, vcc, s10, v170
	v_addc_co_u32_e32 v15, vcc, 0, v171, vcc
	s_mov_b32 s10, 0x18000
	;; [unrolled: 3-line block ×4, first 2 shown]
	s_waitcnt vmcnt(0)
	global_load_dwordx4 v[4:7], v[4:5], off offset:2656
	s_waitcnt vmcnt(0) lgkmcnt(0)
	v_mul_f64 v[8:9], v[2:3], v[6:7]
	v_fma_f64 v[8:9], v[0:1], v[4:5], -v[8:9]
	v_mul_f64 v[0:1], v[0:1], v[6:7]
	v_fma_f64 v[10:11], v[2:3], v[4:5], v[0:1]
	global_load_dwordx4 v[4:7], v[14:15], off offset:2176
	ds_read_b128 v[0:3], v106 offset:20000
	ds_write_b128 v106, v[8:11]
	s_waitcnt vmcnt(0) lgkmcnt(1)
	v_mul_f64 v[8:9], v[2:3], v[6:7]
	v_fma_f64 v[8:9], v[0:1], v[4:5], -v[8:9]
	v_mul_f64 v[0:1], v[0:1], v[6:7]
	v_fma_f64 v[10:11], v[2:3], v[4:5], v[0:1]
	global_load_dwordx4 v[4:7], v[16:17], off offset:1696
	ds_read_b128 v[0:3], v106 offset:40000
	ds_write_b128 v106, v[8:11] offset:20000
	s_waitcnt vmcnt(0) lgkmcnt(1)
	v_mul_f64 v[8:9], v[2:3], v[6:7]
	v_fma_f64 v[8:9], v[0:1], v[4:5], -v[8:9]
	v_mul_f64 v[0:1], v[0:1], v[6:7]
	v_fma_f64 v[10:11], v[2:3], v[4:5], v[0:1]
	global_load_dwordx4 v[4:7], v[12:13], off offset:2000
	ds_read_b128 v[0:3], v106 offset:2000
	ds_write_b128 v106, v[8:11] offset:40000
	s_waitcnt vmcnt(0) lgkmcnt(1)
	v_mul_f64 v[8:9], v[2:3], v[6:7]
	v_fma_f64 v[8:9], v[0:1], v[4:5], -v[8:9]
	v_mul_f64 v[0:1], v[0:1], v[6:7]
	v_fma_f64 v[10:11], v[2:3], v[4:5], v[0:1]
	global_load_dwordx4 v[4:7], v[18:19], off offset:80
	ds_read_b128 v[0:3], v106 offset:22000
	ds_write_b128 v106, v[8:11] offset:2000
	s_waitcnt vmcnt(0) lgkmcnt(1)
	v_mul_f64 v[8:9], v[2:3], v[6:7]
	v_fma_f64 v[8:9], v[0:1], v[4:5], -v[8:9]
	v_mul_f64 v[0:1], v[0:1], v[6:7]
	v_fma_f64 v[10:11], v[2:3], v[4:5], v[0:1]
	global_load_dwordx4 v[4:7], v[16:17], off offset:3696
	ds_read_b128 v[0:3], v106 offset:42000
	ds_write_b128 v106, v[8:11] offset:22000
	s_waitcnt vmcnt(0) lgkmcnt(1)
	v_mul_f64 v[8:9], v[2:3], v[6:7]
	v_fma_f64 v[8:9], v[0:1], v[4:5], -v[8:9]
	v_mul_f64 v[0:1], v[0:1], v[6:7]
	v_fma_f64 v[10:11], v[2:3], v[4:5], v[0:1]
	global_load_dwordx4 v[4:7], v[12:13], off offset:4000
	ds_read_b128 v[0:3], v106 offset:4000
	v_add_co_u32_e32 v12, vcc, s10, v170
	v_addc_co_u32_e32 v13, vcc, 0, v171, vcc
	s_mov_b32 s10, 0x10000
	ds_write_b128 v106, v[8:11] offset:42000
	v_add_co_u32_e32 v16, vcc, s10, v170
	v_addc_co_u32_e32 v17, vcc, 0, v171, vcc
	s_mov_b32 s10, 0x15000
	s_waitcnt vmcnt(0) lgkmcnt(1)
	v_mul_f64 v[8:9], v[2:3], v[6:7]
	v_fma_f64 v[8:9], v[0:1], v[4:5], -v[8:9]
	v_mul_f64 v[0:1], v[0:1], v[6:7]
	v_fma_f64 v[10:11], v[2:3], v[4:5], v[0:1]
	global_load_dwordx4 v[4:7], v[18:19], off offset:2080
	ds_read_b128 v[0:3], v106 offset:24000
	ds_write_b128 v106, v[8:11] offset:4000
	s_waitcnt vmcnt(0) lgkmcnt(1)
	v_mul_f64 v[8:9], v[2:3], v[6:7]
	v_fma_f64 v[8:9], v[0:1], v[4:5], -v[8:9]
	v_mul_f64 v[0:1], v[0:1], v[6:7]
	v_fma_f64 v[10:11], v[2:3], v[4:5], v[0:1]
	global_load_dwordx4 v[4:7], v[12:13], off offset:1600
	ds_read_b128 v[0:3], v106 offset:44000
	ds_write_b128 v106, v[8:11] offset:24000
	;; [unrolled: 8-line block ×4, first 2 shown]
	s_waitcnt vmcnt(0) lgkmcnt(1)
	v_mul_f64 v[8:9], v[2:3], v[6:7]
	v_fma_f64 v[8:9], v[0:1], v[4:5], -v[8:9]
	v_mul_f64 v[0:1], v[0:1], v[6:7]
	v_fma_f64 v[10:11], v[2:3], v[4:5], v[0:1]
	global_load_dwordx4 v[4:7], v[12:13], off offset:3600
	ds_read_b128 v[0:3], v106 offset:46000
	v_add_co_u32_e32 v12, vcc, s10, v170
	v_addc_co_u32_e32 v13, vcc, 0, v171, vcc
	s_mov_b32 s10, 0x1a000
	ds_write_b128 v106, v[8:11] offset:26000
	s_waitcnt vmcnt(0) lgkmcnt(1)
	v_mul_f64 v[8:9], v[2:3], v[6:7]
	v_fma_f64 v[8:9], v[0:1], v[4:5], -v[8:9]
	v_mul_f64 v[0:1], v[0:1], v[6:7]
	v_fma_f64 v[10:11], v[2:3], v[4:5], v[0:1]
	global_load_dwordx4 v[4:7], v[16:17], off offset:2464
	ds_read_b128 v[0:3], v106 offset:8000
	v_add_co_u32_e32 v16, vcc, s10, v170
	v_addc_co_u32_e32 v17, vcc, 0, v171, vcc
	s_mov_b32 s10, 0x11000
	ds_write_b128 v106, v[8:11] offset:46000
	v_add_co_u32_e32 v18, vcc, s10, v170
	v_addc_co_u32_e32 v19, vcc, 0, v171, vcc
	s_mov_b32 s10, 0x16000
	s_waitcnt vmcnt(0) lgkmcnt(1)
	v_mul_f64 v[8:9], v[2:3], v[6:7]
	v_fma_f64 v[8:9], v[0:1], v[4:5], -v[8:9]
	v_mul_f64 v[0:1], v[0:1], v[6:7]
	v_fma_f64 v[10:11], v[2:3], v[4:5], v[0:1]
	global_load_dwordx4 v[4:7], v[12:13], off offset:1984
	ds_read_b128 v[0:3], v106 offset:28000
	ds_write_b128 v106, v[8:11] offset:8000
	s_waitcnt vmcnt(0) lgkmcnt(1)
	v_mul_f64 v[8:9], v[2:3], v[6:7]
	v_fma_f64 v[8:9], v[0:1], v[4:5], -v[8:9]
	v_mul_f64 v[0:1], v[0:1], v[6:7]
	v_fma_f64 v[10:11], v[2:3], v[4:5], v[0:1]
	global_load_dwordx4 v[4:7], v[16:17], off offset:1504
	ds_read_b128 v[0:3], v106 offset:48000
	ds_write_b128 v106, v[8:11] offset:28000
	;; [unrolled: 8-line block ×3, first 2 shown]
	s_waitcnt vmcnt(0) lgkmcnt(1)
	v_mul_f64 v[8:9], v[2:3], v[6:7]
	v_fma_f64 v[8:9], v[0:1], v[4:5], -v[8:9]
	v_mul_f64 v[0:1], v[0:1], v[6:7]
	v_fma_f64 v[10:11], v[2:3], v[4:5], v[0:1]
	global_load_dwordx4 v[4:7], v[12:13], off offset:3984
	ds_read_b128 v[0:3], v106 offset:30000
	v_add_co_u32_e32 v12, vcc, s10, v170
	v_addc_co_u32_e32 v13, vcc, 0, v171, vcc
	s_mov_b32 s10, 0x1b000
	ds_write_b128 v106, v[8:11] offset:10000
	s_waitcnt vmcnt(0) lgkmcnt(1)
	v_mul_f64 v[8:9], v[2:3], v[6:7]
	v_fma_f64 v[8:9], v[0:1], v[4:5], -v[8:9]
	v_mul_f64 v[0:1], v[0:1], v[6:7]
	v_fma_f64 v[10:11], v[2:3], v[4:5], v[0:1]
	global_load_dwordx4 v[4:7], v[16:17], off offset:3504
	ds_read_b128 v[0:3], v106 offset:50000
	v_add_co_u32_e32 v16, vcc, s10, v170
	v_addc_co_u32_e32 v17, vcc, 0, v171, vcc
	s_mov_b32 s10, 0x12000
	ds_write_b128 v106, v[8:11] offset:30000
	;; [unrolled: 11-line block ×3, first 2 shown]
	s_waitcnt vmcnt(0) lgkmcnt(1)
	v_mul_f64 v[8:9], v[2:3], v[6:7]
	v_fma_f64 v[8:9], v[0:1], v[4:5], -v[8:9]
	v_mul_f64 v[0:1], v[0:1], v[6:7]
	v_fma_f64 v[10:11], v[2:3], v[4:5], v[0:1]
	global_load_dwordx4 v[4:7], v[12:13], off offset:1888
	ds_read_b128 v[0:3], v106 offset:32000
	ds_write_b128 v106, v[8:11] offset:12000
	s_waitcnt vmcnt(0) lgkmcnt(1)
	v_mul_f64 v[8:9], v[2:3], v[6:7]
	v_fma_f64 v[8:9], v[0:1], v[4:5], -v[8:9]
	v_mul_f64 v[0:1], v[0:1], v[6:7]
	v_fma_f64 v[10:11], v[2:3], v[4:5], v[0:1]
	global_load_dwordx4 v[4:7], v[16:17], off offset:1408
	ds_read_b128 v[0:3], v106 offset:52000
	ds_write_b128 v106, v[8:11] offset:32000
	;; [unrolled: 8-line block ×4, first 2 shown]
	s_waitcnt vmcnt(0) lgkmcnt(1)
	v_mul_f64 v[8:9], v[2:3], v[6:7]
	v_fma_f64 v[8:9], v[0:1], v[4:5], -v[8:9]
	v_mul_f64 v[0:1], v[0:1], v[6:7]
	v_fma_f64 v[10:11], v[2:3], v[4:5], v[0:1]
	global_load_dwordx4 v[4:7], v[16:17], off offset:3408
	ds_read_b128 v[0:3], v106 offset:54000
	v_add_co_u32_e32 v16, vcc, s10, v170
	v_addc_co_u32_e32 v17, vcc, 0, v171, vcc
	s_mov_b32 s10, 0x1c000
	ds_write_b128 v106, v[8:11] offset:34000
	s_waitcnt vmcnt(0) lgkmcnt(1)
	v_mul_f64 v[8:9], v[2:3], v[6:7]
	v_fma_f64 v[8:9], v[0:1], v[4:5], -v[8:9]
	v_mul_f64 v[0:1], v[0:1], v[6:7]
	v_fma_f64 v[10:11], v[2:3], v[4:5], v[0:1]
	global_load_dwordx4 v[4:7], v[18:19], off offset:2272
	ds_read_b128 v[0:3], v106 offset:16000
	ds_write_b128 v106, v[8:11] offset:54000
	s_waitcnt vmcnt(0) lgkmcnt(1)
	v_mul_f64 v[8:9], v[2:3], v[6:7]
	v_fma_f64 v[8:9], v[0:1], v[4:5], -v[8:9]
	v_mul_f64 v[0:1], v[0:1], v[6:7]
	v_fma_f64 v[10:11], v[2:3], v[4:5], v[0:1]
	global_load_dwordx4 v[4:7], v[16:17], off offset:1792
	ds_read_b128 v[0:3], v106 offset:36000
	ds_write_b128 v106, v[8:11] offset:16000
	s_waitcnt vmcnt(0) lgkmcnt(1)
	v_mul_f64 v[8:9], v[2:3], v[6:7]
	v_fma_f64 v[8:9], v[0:1], v[4:5], -v[8:9]
	v_mul_f64 v[0:1], v[0:1], v[6:7]
	v_fma_f64 v[10:11], v[2:3], v[4:5], v[0:1]
	v_add_co_u32_e32 v4, vcc, s10, v170
	v_addc_co_u32_e32 v5, vcc, 0, v171, vcc
	ds_read_b128 v[0:3], v106 offset:56000
	ds_write_b128 v106, v[8:11] offset:36000
	global_load_dwordx4 v[6:9], v[4:5], off offset:1312
	s_waitcnt vmcnt(0) lgkmcnt(1)
	v_mul_f64 v[10:11], v[2:3], v[8:9]
	v_fma_f64 v[10:11], v[0:1], v[6:7], -v[10:11]
	v_mul_f64 v[0:1], v[0:1], v[8:9]
	v_fma_f64 v[12:13], v[2:3], v[6:7], v[0:1]
	global_load_dwordx4 v[6:9], v[14:15], off offset:176
	ds_read_b128 v[0:3], v106 offset:18000
	ds_write_b128 v106, v[10:13] offset:56000
	s_waitcnt vmcnt(0) lgkmcnt(1)
	v_mul_f64 v[10:11], v[2:3], v[8:9]
	v_fma_f64 v[10:11], v[0:1], v[6:7], -v[10:11]
	v_mul_f64 v[0:1], v[0:1], v[8:9]
	v_fma_f64 v[12:13], v[2:3], v[6:7], v[0:1]
	global_load_dwordx4 v[6:9], v[16:17], off offset:3792
	ds_read_b128 v[0:3], v106 offset:38000
	ds_write_b128 v106, v[10:13] offset:18000
	;; [unrolled: 8-line block ×3, first 2 shown]
	s_waitcnt vmcnt(0) lgkmcnt(1)
	v_mul_f64 v[8:9], v[2:3], v[6:7]
	v_fma_f64 v[8:9], v[0:1], v[4:5], -v[8:9]
	v_mul_f64 v[0:1], v[0:1], v[6:7]
	v_fma_f64 v[10:11], v[2:3], v[4:5], v[0:1]
	ds_write_b128 v106, v[8:11] offset:58000
	s_waitcnt lgkmcnt(0)
	s_barrier
	ds_read_b128 v[64:67], v106
	ds_read_b128 v[68:71], v106 offset:20000
	ds_read_b128 v[84:87], v106 offset:40000
	;; [unrolled: 1-line block ×29, first 2 shown]
	s_waitcnt lgkmcnt(14)
	v_add_f64 v[92:93], v[64:65], v[68:69]
	v_add_f64 v[104:105], v[134:135], -v[138:139]
	s_waitcnt lgkmcnt(0)
	s_barrier
	v_add_f64 v[108:109], v[92:93], v[84:85]
	v_add_f64 v[92:93], v[68:69], v[84:85]
	v_fma_f64 v[64:65], v[92:93], -0.5, v[64:65]
	v_add_f64 v[92:93], v[70:71], -v[86:87]
	v_fma_f64 v[112:113], v[92:93], s[18:19], v[64:65]
	v_fma_f64 v[116:117], v[92:93], s[16:17], v[64:65]
	v_add_f64 v[64:65], v[66:67], v[70:71]
	v_add_f64 v[110:111], v[64:65], v[86:87]
	;; [unrolled: 1-line block ×3, first 2 shown]
	v_add_f64 v[70:71], v[136:137], -v[140:141]
	v_fma_f64 v[64:65], v[64:65], -0.5, v[66:67]
	v_add_f64 v[66:67], v[68:69], -v[84:85]
	v_fma_f64 v[114:115], v[66:67], s[16:17], v[64:65]
	v_fma_f64 v[118:119], v[66:67], s[18:19], v[64:65]
	v_add_f64 v[64:65], v[88:89], v[122:123]
	v_add_f64 v[66:67], v[124:125], -v[128:129]
	v_add_f64 v[92:93], v[64:65], v[126:127]
	v_add_f64 v[64:65], v[122:123], v[126:127]
	v_fma_f64 v[64:65], v[64:65], -0.5, v[88:89]
	v_fma_f64 v[88:89], v[66:67], s[18:19], v[64:65]
	v_fma_f64 v[120:121], v[66:67], s[16:17], v[64:65]
	v_add_f64 v[64:65], v[90:91], v[124:125]
	v_add_f64 v[66:67], v[122:123], -v[126:127]
	v_add_f64 v[126:127], v[98:99], -v[102:103]
	v_add_f64 v[94:95], v[64:65], v[128:129]
	v_add_f64 v[64:65], v[124:125], v[128:129]
	v_fma_f64 v[64:65], v[64:65], -0.5, v[90:91]
	v_fma_f64 v[90:91], v[66:67], s[16:17], v[64:65]
	v_fma_f64 v[122:123], v[66:67], s[18:19], v[64:65]
	v_add_f64 v[66:67], v[134:135], v[138:139]
	v_add_f64 v[64:65], v[130:131], v[134:135]
	v_fma_f64 v[66:67], v[66:67], -0.5, v[130:131]
	v_add_f64 v[64:65], v[64:65], v[138:139]
	v_fma_f64 v[68:69], v[70:71], s[18:19], v[66:67]
	v_fma_f64 v[84:85], v[70:71], s[16:17], v[66:67]
	v_add_f64 v[70:71], v[136:137], v[140:141]
	v_add_f64 v[66:67], v[132:133], v[136:137]
	v_fma_f64 v[86:87], v[70:71], -0.5, v[132:133]
	v_add_f64 v[66:67], v[66:67], v[140:141]
	v_fma_f64 v[70:71], v[104:105], s[16:17], v[86:87]
	v_fma_f64 v[86:87], v[104:105], s[18:19], v[86:87]
	v_add_f64 v[104:105], v[0:1], v[96:97]
	v_add_f64 v[124:125], v[104:105], v[100:101]
	;; [unrolled: 1-line block ×3, first 2 shown]
	v_add_f64 v[96:97], v[96:97], -v[100:101]
	v_add_f64 v[100:101], v[74:75], -v[78:79]
	v_fma_f64 v[104:105], v[104:105], -0.5, v[0:1]
	v_fma_f64 v[0:1], v[126:127], s[18:19], v[104:105]
	v_fma_f64 v[128:129], v[126:127], s[16:17], v[104:105]
	v_add_f64 v[104:105], v[2:3], v[98:99]
	v_add_f64 v[98:99], v[98:99], v[102:103]
	v_add_f64 v[126:127], v[104:105], v[102:103]
	v_fma_f64 v[98:99], v[98:99], -0.5, v[2:3]
	v_fma_f64 v[2:3], v[96:97], s[16:17], v[98:99]
	v_fma_f64 v[130:131], v[96:97], s[18:19], v[98:99]
	v_add_f64 v[98:99], v[72:73], v[76:77]
	v_add_f64 v[96:97], v[80:81], v[72:73]
	v_add_f64 v[72:73], v[72:73], -v[76:77]
	v_fma_f64 v[98:99], v[98:99], -0.5, v[80:81]
	v_add_f64 v[96:97], v[96:97], v[76:77]
	v_add_f64 v[76:77], v[50:51], -v[54:55]
	v_fma_f64 v[80:81], v[100:101], s[18:19], v[98:99]
	v_fma_f64 v[100:101], v[100:101], s[16:17], v[98:99]
	v_add_f64 v[98:99], v[82:83], v[74:75]
	v_add_f64 v[74:75], v[74:75], v[78:79]
	v_add_f64 v[98:99], v[98:99], v[78:79]
	v_fma_f64 v[74:75], v[74:75], -0.5, v[82:83]
	v_fma_f64 v[82:83], v[72:73], s[16:17], v[74:75]
	v_fma_f64 v[102:103], v[72:73], s[18:19], v[74:75]
	v_add_f64 v[74:75], v[48:49], v[52:53]
	v_add_f64 v[72:73], v[56:57], v[48:49]
	v_add_f64 v[48:49], v[48:49], -v[52:53]
	v_fma_f64 v[74:75], v[74:75], -0.5, v[56:57]
	v_add_f64 v[72:73], v[72:73], v[52:53]
	v_add_f64 v[52:53], v[38:39], -v[42:43]
	v_fma_f64 v[56:57], v[76:77], s[18:19], v[74:75]
	v_fma_f64 v[76:77], v[76:77], s[16:17], v[74:75]
	v_add_f64 v[74:75], v[58:59], v[50:51]
	v_add_f64 v[50:51], v[50:51], v[54:55]
	v_add_f64 v[74:75], v[74:75], v[54:55]
	v_fma_f64 v[50:51], v[50:51], -0.5, v[58:59]
	v_fma_f64 v[58:59], v[48:49], s[16:17], v[50:51]
	v_fma_f64 v[78:79], v[48:49], s[18:19], v[50:51]
	v_add_f64 v[50:51], v[36:37], v[40:41]
	v_add_f64 v[48:49], v[44:45], v[36:37]
	v_add_f64 v[36:37], v[36:37], -v[40:41]
	v_fma_f64 v[50:51], v[50:51], -0.5, v[44:45]
	v_add_f64 v[48:49], v[48:49], v[40:41]
	v_add_f64 v[40:41], v[26:27], -v[30:31]
	v_fma_f64 v[44:45], v[52:53], s[18:19], v[50:51]
	v_fma_f64 v[52:53], v[52:53], s[16:17], v[50:51]
	v_add_f64 v[50:51], v[46:47], v[38:39]
	v_add_f64 v[38:39], v[38:39], v[42:43]
	v_add_f64 v[50:51], v[50:51], v[42:43]
	v_fma_f64 v[38:39], v[38:39], -0.5, v[46:47]
	v_fma_f64 v[46:47], v[36:37], s[16:17], v[38:39]
	v_fma_f64 v[54:55], v[36:37], s[18:19], v[38:39]
	v_add_f64 v[38:39], v[24:25], v[28:29]
	v_add_f64 v[36:37], v[32:33], v[24:25]
	v_add_f64 v[24:25], v[24:25], -v[28:29]
	v_fma_f64 v[38:39], v[38:39], -0.5, v[32:33]
	v_add_f64 v[36:37], v[36:37], v[28:29]
	v_add_f64 v[28:29], v[14:15], -v[18:19]
	v_fma_f64 v[32:33], v[40:41], s[18:19], v[38:39]
	v_fma_f64 v[40:41], v[40:41], s[16:17], v[38:39]
	v_add_f64 v[38:39], v[34:35], v[26:27]
	v_add_f64 v[26:27], v[26:27], v[30:31]
	;; [unrolled: 1-line block ×3, first 2 shown]
	v_fma_f64 v[26:27], v[26:27], -0.5, v[34:35]
	v_fma_f64 v[34:35], v[24:25], s[16:17], v[26:27]
	v_fma_f64 v[42:43], v[24:25], s[18:19], v[26:27]
	v_add_f64 v[26:27], v[12:13], v[16:17]
	v_add_f64 v[24:25], v[20:21], v[12:13]
	v_add_f64 v[12:13], v[12:13], -v[16:17]
	v_fma_f64 v[26:27], v[26:27], -0.5, v[20:21]
	v_add_f64 v[24:25], v[24:25], v[16:17]
	v_fma_f64 v[20:21], v[28:29], s[18:19], v[26:27]
	v_fma_f64 v[28:29], v[28:29], s[16:17], v[26:27]
	v_add_f64 v[26:27], v[22:23], v[14:15]
	v_add_f64 v[14:15], v[14:15], v[18:19]
	v_add_f64 v[26:27], v[26:27], v[18:19]
	v_fma_f64 v[14:15], v[14:15], -0.5, v[22:23]
	v_add_f64 v[18:19], v[10:11], -v[6:7]
	v_fma_f64 v[22:23], v[12:13], s[16:17], v[14:15]
	v_fma_f64 v[30:31], v[12:13], s[18:19], v[14:15]
	v_add_f64 v[14:15], v[8:9], v[4:5]
	v_add_f64 v[12:13], v[60:61], v[8:9]
	v_fma_f64 v[14:15], v[14:15], -0.5, v[60:61]
	v_add_f64 v[12:13], v[12:13], v[4:5]
	v_add_f64 v[4:5], v[8:9], -v[4:5]
	v_fma_f64 v[16:17], v[18:19], s[18:19], v[14:15]
	v_fma_f64 v[60:61], v[18:19], s[16:17], v[14:15]
	v_add_f64 v[14:15], v[62:63], v[10:11]
	v_add_f64 v[14:15], v[14:15], v[6:7]
	;; [unrolled: 1-line block ×3, first 2 shown]
	v_fma_f64 v[6:7], v[6:7], -0.5, v[62:63]
	v_fma_f64 v[18:19], v[4:5], s[16:17], v[6:7]
	v_fma_f64 v[62:63], v[4:5], s[18:19], v[6:7]
	buffer_load_dword v4, off, s[28:31], 0 offset:592 ; 4-byte Folded Reload
	s_waitcnt vmcnt(0)
	ds_write_b128 v4, v[108:111]
	ds_write_b128 v4, v[112:115] offset:16
	ds_write_b128 v4, v[116:119] offset:32
	buffer_load_dword v4, off, s[28:31], 0 offset:588 ; 4-byte Folded Reload
	s_waitcnt vmcnt(0)
	ds_write_b128 v4, v[92:95]
	ds_write_b128 v4, v[88:91] offset:16
	ds_write_b128 v4, v[120:123] offset:32
	buffer_load_dword v4, off, s[28:31], 0 offset:584 ; 4-byte Folded Reload
	s_waitcnt vmcnt(0)
	ds_write_b128 v4, v[64:67]
	ds_write_b128 v4, v[68:71] offset:16
	ds_write_b128 v4, v[84:87] offset:32
	buffer_load_dword v4, off, s[28:31], 0 offset:580 ; 4-byte Folded Reload
	s_waitcnt vmcnt(0)
	ds_write_b128 v4, v[124:127]
	ds_write_b128 v4, v[0:3] offset:16
	ds_write_b128 v4, v[128:131] offset:32
	buffer_load_dword v0, off, s[28:31], 0 offset:576 ; 4-byte Folded Reload
	s_waitcnt vmcnt(0)
	ds_write_b128 v0, v[96:99]
	ds_write_b128 v0, v[80:83] offset:16
	ds_write_b128 v0, v[100:103] offset:32
	buffer_load_dword v0, off, s[28:31], 0 offset:572 ; 4-byte Folded Reload
	s_waitcnt vmcnt(0)
	ds_write_b128 v0, v[72:75]
	ds_write_b128 v0, v[56:59] offset:16
	ds_write_b128 v0, v[76:79] offset:32
	buffer_load_dword v0, off, s[28:31], 0 offset:568 ; 4-byte Folded Reload
	s_waitcnt vmcnt(0)
	ds_write_b128 v0, v[48:51]
	ds_write_b128 v0, v[44:47] offset:16
	ds_write_b128 v0, v[52:55] offset:32
	buffer_load_dword v0, off, s[28:31], 0 offset:532 ; 4-byte Folded Reload
	s_waitcnt vmcnt(0)
	ds_write_b128 v0, v[36:39]
	ds_write_b128 v0, v[32:35] offset:16
	ds_write_b128 v0, v[40:43] offset:32
	buffer_load_dword v0, off, s[28:31], 0 offset:496 ; 4-byte Folded Reload
	s_waitcnt vmcnt(0)
	ds_write_b128 v0, v[24:27]
	ds_write_b128 v0, v[20:23] offset:16
	ds_write_b128 v0, v[28:31] offset:32
	buffer_load_dword v0, off, s[28:31], 0 offset:492 ; 4-byte Folded Reload
	s_waitcnt vmcnt(0)
	ds_write_b128 v0, v[12:15]
	ds_write_b128 v0, v[16:19] offset:16
	ds_write_b128 v0, v[60:63] offset:32
	s_waitcnt lgkmcnt(0)
	s_barrier
	ds_read_b128 v[4:7], v106
	ds_read_b128 v[8:11], v106 offset:12000
	ds_read_b128 v[12:15], v106 offset:24000
	;; [unrolled: 1-line block ×29, first 2 shown]
	buffer_load_dword v125, off, s[28:31], 0 offset:552 ; 4-byte Folded Reload
	buffer_load_dword v126, off, s[28:31], 0 offset:556 ; 4-byte Folded Reload
	;; [unrolled: 1-line block ×4, first 2 shown]
	s_waitcnt vmcnt(0) lgkmcnt(14)
	v_mul_f64 v[104:105], v[127:128], v[10:11]
	v_fma_f64 v[123:124], v[125:126], v[8:9], v[104:105]
	v_mul_f64 v[8:9], v[127:128], v[8:9]
	v_fma_f64 v[8:9], v[125:126], v[10:11], -v[8:9]
	buffer_load_dword v125, off, s[28:31], 0 offset:536 ; 4-byte Folded Reload
	buffer_load_dword v126, off, s[28:31], 0 offset:540 ; 4-byte Folded Reload
	buffer_load_dword v127, off, s[28:31], 0 offset:544 ; 4-byte Folded Reload
	buffer_load_dword v128, off, s[28:31], 0 offset:548 ; 4-byte Folded Reload
	s_waitcnt vmcnt(0)
	v_mul_f64 v[10:11], v[127:128], v[14:15]
	v_fma_f64 v[10:11], v[125:126], v[12:13], v[10:11]
	v_mul_f64 v[12:13], v[127:128], v[12:13]
	v_fma_f64 v[12:13], v[125:126], v[14:15], -v[12:13]
	buffer_load_dword v125, off, s[28:31], 0 offset:516 ; 4-byte Folded Reload
	buffer_load_dword v126, off, s[28:31], 0 offset:520 ; 4-byte Folded Reload
	buffer_load_dword v127, off, s[28:31], 0 offset:524 ; 4-byte Folded Reload
	buffer_load_dword v128, off, s[28:31], 0 offset:528 ; 4-byte Folded Reload
	s_waitcnt vmcnt(0)
	;; [unrolled: 9-line block ×3, first 2 shown]
	v_mul_f64 v[18:19], v[127:128], v[22:23]
	v_fma_f64 v[18:19], v[125:126], v[20:21], v[18:19]
	v_mul_f64 v[20:21], v[127:128], v[20:21]
	buffer_load_dword v127, off, s[28:31], 0 offset:644 ; 4-byte Folded Reload
	buffer_load_dword v128, off, s[28:31], 0 offset:648 ; 4-byte Folded Reload
	;; [unrolled: 1-line block ×4, first 2 shown]
	v_fma_f64 v[22:23], v[125:126], v[22:23], -v[20:21]
	s_waitcnt vmcnt(0)
	v_mul_f64 v[20:21], v[129:130], v[26:27]
	v_fma_f64 v[125:126], v[127:128], v[24:25], v[20:21]
	v_mul_f64 v[20:21], v[129:130], v[24:25]
	v_fma_f64 v[127:128], v[127:128], v[26:27], -v[20:21]
	buffer_load_dword v24, off, s[28:31], 0 offset:628 ; 4-byte Folded Reload
	buffer_load_dword v25, off, s[28:31], 0 offset:632 ; 4-byte Folded Reload
	;; [unrolled: 1-line block ×4, first 2 shown]
	s_waitcnt vmcnt(0)
	v_mul_f64 v[20:21], v[26:27], v[30:31]
	v_fma_f64 v[129:130], v[24:25], v[28:29], v[20:21]
	v_mul_f64 v[20:21], v[26:27], v[28:29]
	v_add_f64 v[28:29], v[123:124], -v[10:11]
	v_fma_f64 v[131:132], v[24:25], v[30:31], -v[20:21]
	buffer_load_dword v24, off, s[28:31], 0 offset:612 ; 4-byte Folded Reload
	buffer_load_dword v25, off, s[28:31], 0 offset:616 ; 4-byte Folded Reload
	;; [unrolled: 1-line block ×4, first 2 shown]
	v_add_f64 v[30:31], v[12:13], -v[16:17]
	s_waitcnt vmcnt(0)
	v_mul_f64 v[20:21], v[26:27], v[38:39]
	v_fma_f64 v[133:134], v[24:25], v[36:37], v[20:21]
	v_mul_f64 v[20:21], v[26:27], v[36:37]
	v_fma_f64 v[36:37], v[24:25], v[38:39], -v[20:21]
	buffer_load_dword v24, off, s[28:31], 0 offset:596 ; 4-byte Folded Reload
	buffer_load_dword v25, off, s[28:31], 0 offset:600 ; 4-byte Folded Reload
	buffer_load_dword v26, off, s[28:31], 0 offset:604 ; 4-byte Folded Reload
	buffer_load_dword v27, off, s[28:31], 0 offset:608 ; 4-byte Folded Reload
	s_waitcnt vmcnt(0)
	v_mul_f64 v[20:21], v[26:27], v[42:43]
	v_fma_f64 v[38:39], v[24:25], v[40:41], v[20:21]
	v_mul_f64 v[20:21], v[26:27], v[40:41]
	v_fma_f64 v[40:41], v[24:25], v[42:43], -v[20:21]
	buffer_load_dword v24, off, s[28:31], 0 offset:732 ; 4-byte Folded Reload
	buffer_load_dword v25, off, s[28:31], 0 offset:736 ; 4-byte Folded Reload
	;; [unrolled: 1-line block ×4, first 2 shown]
	s_waitcnt vmcnt(0)
	v_mul_f64 v[20:21], v[26:27], v[46:47]
	v_fma_f64 v[42:43], v[24:25], v[44:45], v[20:21]
	v_mul_f64 v[20:21], v[26:27], v[44:45]
	v_add_f64 v[44:45], v[18:19], -v[14:15]
	v_fma_f64 v[135:136], v[24:25], v[46:47], -v[20:21]
	buffer_load_dword v24, off, s[28:31], 0 offset:748 ; 4-byte Folded Reload
	buffer_load_dword v25, off, s[28:31], 0 offset:752 ; 4-byte Folded Reload
	;; [unrolled: 1-line block ×4, first 2 shown]
	v_add_f64 v[44:45], v[28:29], v[44:45]
	v_add_f64 v[46:47], v[14:15], -v[18:19]
	s_waitcnt vmcnt(0)
	v_mul_f64 v[20:21], v[26:27], v[50:51]
	v_fma_f64 v[137:138], v[24:25], v[48:49], v[20:21]
	v_mul_f64 v[20:21], v[26:27], v[48:49]
	v_add_f64 v[48:49], v[129:130], -v[133:134]
	v_fma_f64 v[139:140], v[24:25], v[50:51], -v[20:21]
	buffer_load_dword v24, off, s[28:31], 0 offset:764 ; 4-byte Folded Reload
	buffer_load_dword v25, off, s[28:31], 0 offset:768 ; 4-byte Folded Reload
	;; [unrolled: 1-line block ×4, first 2 shown]
	v_add_f64 v[50:51], v[40:41], -v[36:37]
	s_waitcnt vmcnt(0)
	v_mul_f64 v[20:21], v[26:27], v[54:55]
	v_fma_f64 v[141:142], v[24:25], v[52:53], v[20:21]
	v_mul_f64 v[20:21], v[26:27], v[52:53]
	v_add_f64 v[52:53], v[42:43], -v[137:138]
	v_fma_f64 v[143:144], v[24:25], v[54:55], -v[20:21]
	buffer_load_dword v24, off, s[28:31], 0 offset:780 ; 4-byte Folded Reload
	buffer_load_dword v25, off, s[28:31], 0 offset:784 ; 4-byte Folded Reload
	;; [unrolled: 1-line block ×4, first 2 shown]
	s_waitcnt vmcnt(0)
	v_mul_f64 v[20:21], v[26:27], v[58:59]
	v_fma_f64 v[54:55], v[24:25], v[56:57], v[20:21]
	v_mul_f64 v[20:21], v[26:27], v[56:57]
	v_fma_f64 v[145:146], v[24:25], v[58:59], -v[20:21]
	buffer_load_dword v24, off, s[28:31], 0 offset:928 ; 4-byte Folded Reload
	buffer_load_dword v25, off, s[28:31], 0 offset:932 ; 4-byte Folded Reload
	;; [unrolled: 1-line block ×4, first 2 shown]
	s_waitcnt vmcnt(0) lgkmcnt(13)
	v_mul_f64 v[20:21], v[26:27], v[62:63]
	v_fma_f64 v[147:148], v[24:25], v[60:61], v[20:21]
	v_mul_f64 v[20:21], v[26:27], v[60:61]
	v_add_f64 v[60:61], v[54:55], -v[141:142]
	v_fma_f64 v[149:150], v[24:25], v[62:63], -v[20:21]
	buffer_load_dword v24, off, s[28:31], 0 offset:944 ; 4-byte Folded Reload
	buffer_load_dword v25, off, s[28:31], 0 offset:948 ; 4-byte Folded Reload
	;; [unrolled: 1-line block ×4, first 2 shown]
	v_add_f64 v[52:53], v[52:53], v[60:61]
	v_add_f64 v[60:61], v[137:138], -v[42:43]
	v_add_f64 v[62:63], v[141:142], -v[54:55]
	v_add_f64 v[60:61], v[60:61], v[62:63]
	v_add_f64 v[62:63], v[137:138], -v[141:142]
	s_waitcnt vmcnt(0) lgkmcnt(12)
	v_mul_f64 v[20:21], v[26:27], v[74:75]
	v_fma_f64 v[151:152], v[24:25], v[72:73], v[20:21]
	v_mul_f64 v[20:21], v[26:27], v[72:73]
	v_fma_f64 v[72:73], v[24:25], v[74:75], -v[20:21]
	buffer_load_dword v24, off, s[28:31], 0 offset:960 ; 4-byte Folded Reload
	buffer_load_dword v25, off, s[28:31], 0 offset:964 ; 4-byte Folded Reload
	buffer_load_dword v26, off, s[28:31], 0 offset:968 ; 4-byte Folded Reload
	buffer_load_dword v27, off, s[28:31], 0 offset:972 ; 4-byte Folded Reload
	s_waitcnt vmcnt(0) lgkmcnt(11)
	v_mul_f64 v[20:21], v[26:27], v[78:79]
	v_fma_f64 v[74:75], v[24:25], v[76:77], v[20:21]
	v_mul_f64 v[20:21], v[26:27], v[76:77]
	v_fma_f64 v[76:77], v[24:25], v[78:79], -v[20:21]
	buffer_load_dword v24, off, s[28:31], 0 offset:992 ; 4-byte Folded Reload
	buffer_load_dword v25, off, s[28:31], 0 offset:996 ; 4-byte Folded Reload
	buffer_load_dword v26, off, s[28:31], 0 offset:1000 ; 4-byte Folded Reload
	buffer_load_dword v27, off, s[28:31], 0 offset:1004 ; 4-byte Folded Reload
	;; [unrolled: 9-line block ×3, first 2 shown]
	s_waitcnt lgkmcnt(8)
	v_mul_f64 v[20:21], v[250:251], v[90:91]
	v_fma_f64 v[82:83], v[248:249], v[88:89], v[20:21]
	v_mul_f64 v[20:21], v[250:251], v[88:89]
	v_fma_f64 v[88:89], v[248:249], v[90:91], -v[20:21]
	s_waitcnt vmcnt(0) lgkmcnt(7)
	v_mul_f64 v[20:21], v[26:27], v[94:95]
	v_fma_f64 v[90:91], v[24:25], v[92:93], v[20:21]
	v_mul_f64 v[20:21], v[26:27], v[92:93]
	v_fma_f64 v[92:93], v[24:25], v[94:95], -v[20:21]
	buffer_load_dword v24, off, s[28:31], 0 offset:1156 ; 4-byte Folded Reload
	buffer_load_dword v25, off, s[28:31], 0 offset:1160 ; 4-byte Folded Reload
	;; [unrolled: 1-line block ×4, first 2 shown]
	s_waitcnt vmcnt(0) lgkmcnt(6)
	v_mul_f64 v[20:21], v[26:27], v[98:99]
	v_fma_f64 v[94:95], v[24:25], v[96:97], v[20:21]
	v_mul_f64 v[20:21], v[26:27], v[96:97]
	v_fma_f64 v[96:97], v[24:25], v[98:99], -v[20:21]
	buffer_load_dword v24, off, s[28:31], 0 offset:1172 ; 4-byte Folded Reload
	buffer_load_dword v25, off, s[28:31], 0 offset:1176 ; 4-byte Folded Reload
	;; [unrolled: 1-line block ×4, first 2 shown]
	s_waitcnt vmcnt(0) lgkmcnt(0)
	s_barrier
	v_mul_f64 v[20:21], v[26:27], v[102:103]
	v_fma_f64 v[98:99], v[24:25], v[100:101], v[20:21]
	v_mul_f64 v[20:21], v[26:27], v[100:101]
	v_fma_f64 v[153:154], v[24:25], v[102:103], -v[20:21]
	v_mul_f64 v[20:21], v[178:179], v[109:110]
	v_add_f64 v[24:25], v[8:9], -v[22:23]
	v_fma_f64 v[170:171], v[176:177], v[107:108], v[20:21]
	v_mul_f64 v[20:21], v[178:179], v[107:108]
	v_fma_f64 v[100:101], v[176:177], v[109:110], -v[20:21]
	v_mul_f64 v[20:21], v[226:227], v[113:114]
	v_fma_f64 v[107:108], v[224:225], v[111:112], v[20:21]
	v_mul_f64 v[20:21], v[226:227], v[111:112]
	v_fma_f64 v[102:103], v[224:225], v[113:114], -v[20:21]
	v_mul_f64 v[20:21], v[234:235], v[117:118]
	v_fma_f64 v[109:110], v[232:233], v[115:116], v[20:21]
	v_mul_f64 v[20:21], v[234:235], v[115:116]
	v_add_f64 v[115:116], v[145:146], -v[143:144]
	v_fma_f64 v[104:105], v[232:233], v[117:118], -v[20:21]
	v_mul_f64 v[20:21], v[246:247], v[121:122]
	v_add_f64 v[117:118], v[143:144], -v[145:146]
	v_fma_f64 v[111:112], v[244:245], v[119:120], v[20:21]
	v_mul_f64 v[20:21], v[246:247], v[119:120]
	v_add_f64 v[119:120], v[72:73], -v[76:77]
	v_fma_f64 v[113:114], v[244:245], v[121:122], -v[20:21]
	v_add_f64 v[20:21], v[4:5], v[123:124]
	v_add_f64 v[121:122], v[147:148], -v[151:152]
	v_add_f64 v[20:21], v[20:21], v[10:11]
	v_add_f64 v[20:21], v[20:21], v[14:15]
	;; [unrolled: 1-line block ×4, first 2 shown]
	v_fma_f64 v[20:21], v[20:21], -0.5, v[4:5]
	v_fma_f64 v[26:27], v[24:25], s[14:15], v[20:21]
	v_fma_f64 v[20:21], v[24:25], s[2:3], v[20:21]
	;; [unrolled: 1-line block ×6, first 2 shown]
	v_add_f64 v[20:21], v[123:124], v[18:19]
	v_add_f64 v[26:27], v[10:11], -v[123:124]
	v_add_f64 v[18:19], v[123:124], -v[18:19]
	;; [unrolled: 1-line block ×4, first 2 shown]
	v_fma_f64 v[4:5], v[20:21], -0.5, v[4:5]
	v_add_f64 v[26:27], v[26:27], v[46:47]
	v_add_f64 v[121:122], v[121:122], v[123:124]
	v_fma_f64 v[20:21], v[30:31], s[2:3], v[4:5]
	v_fma_f64 v[4:5], v[30:31], s[14:15], v[4:5]
	v_add_f64 v[30:31], v[22:23], -v[16:17]
	v_fma_f64 v[20:21], v[24:25], s[6:7], v[20:21]
	v_fma_f64 v[4:5], v[24:25], s[8:9], v[4:5]
	v_fma_f64 v[20:21], v[26:27], s[4:5], v[20:21]
	v_fma_f64 v[24:25], v[26:27], s[4:5], v[4:5]
	v_add_f64 v[4:5], v[6:7], v[8:9]
	v_add_f64 v[4:5], v[4:5], v[12:13]
	;; [unrolled: 1-line block ×5, first 2 shown]
	v_fma_f64 v[4:5], v[4:5], -0.5, v[6:7]
	v_fma_f64 v[26:27], v[18:19], s[2:3], v[4:5]
	v_fma_f64 v[4:5], v[18:19], s[14:15], v[4:5]
	;; [unrolled: 1-line block ×3, first 2 shown]
	v_add_f64 v[26:27], v[8:9], -v[12:13]
	v_fma_f64 v[4:5], v[10:11], s[6:7], v[4:5]
	v_add_f64 v[26:27], v[26:27], v[30:31]
	v_fma_f64 v[46:47], v[26:27], s[4:5], v[4:5]
	v_add_f64 v[4:5], v[8:9], v[22:23]
	v_add_f64 v[8:9], v[12:13], -v[8:9]
	v_add_f64 v[12:13], v[16:17], -v[22:23]
	v_fma_f64 v[30:31], v[26:27], s[4:5], v[14:15]
	v_add_f64 v[14:15], v[125:126], -v[129:130]
	v_add_f64 v[16:17], v[38:39], -v[133:134]
	v_fma_f64 v[4:5], v[4:5], -0.5, v[6:7]
	v_add_f64 v[8:9], v[8:9], v[12:13]
	v_add_f64 v[14:15], v[14:15], v[16:17]
	v_fma_f64 v[6:7], v[10:11], s[14:15], v[4:5]
	v_fma_f64 v[4:5], v[10:11], s[2:3], v[4:5]
	v_add_f64 v[10:11], v[131:132], -v[36:37]
	v_fma_f64 v[6:7], v[18:19], s[8:9], v[6:7]
	v_fma_f64 v[4:5], v[18:19], s[6:7], v[4:5]
	v_add_f64 v[18:19], v[133:134], -v[38:39]
	v_fma_f64 v[22:23], v[8:9], s[4:5], v[6:7]
	v_fma_f64 v[26:27], v[8:9], s[4:5], v[4:5]
	v_add_f64 v[4:5], v[0:1], v[125:126]
	v_add_f64 v[6:7], v[127:128], -v[40:41]
	ds_write_b128 v168, v[56:59]
	ds_write_b128 v168, v[28:31] offset:48
	ds_write_b128 v168, v[20:23] offset:96
	ds_write_b128 v168, v[24:27] offset:144
	ds_write_b128 v168, v[44:47] offset:192
	buffer_load_dword v20, off, s[28:31], 0 offset:1652 ; 4-byte Folded Reload
	v_add_f64 v[4:5], v[4:5], v[129:130]
	v_add_f64 v[4:5], v[4:5], v[133:134]
	;; [unrolled: 1-line block ×4, first 2 shown]
	v_fma_f64 v[4:5], v[4:5], -0.5, v[0:1]
	v_fma_f64 v[8:9], v[6:7], s[14:15], v[4:5]
	v_fma_f64 v[4:5], v[6:7], s[2:3], v[4:5]
	;; [unrolled: 1-line block ×6, first 2 shown]
	v_add_f64 v[4:5], v[125:126], v[38:39]
	v_add_f64 v[14:15], v[129:130], -v[125:126]
	v_add_f64 v[38:39], v[125:126], -v[38:39]
	v_fma_f64 v[4:5], v[4:5], -0.5, v[0:1]
	v_add_f64 v[14:15], v[14:15], v[18:19]
	v_add_f64 v[18:19], v[127:128], -v[131:132]
	v_fma_f64 v[0:1], v[10:11], s[2:3], v[4:5]
	v_fma_f64 v[4:5], v[10:11], s[14:15], v[4:5]
	v_add_f64 v[18:19], v[18:19], v[50:51]
	v_add_f64 v[50:51], v[131:132], -v[127:128]
	v_fma_f64 v[0:1], v[6:7], s[6:7], v[0:1]
	v_fma_f64 v[4:5], v[6:7], s[8:9], v[4:5]
	v_add_f64 v[6:7], v[2:3], v[127:128]
	v_fma_f64 v[0:1], v[14:15], s[4:5], v[0:1]
	v_fma_f64 v[4:5], v[14:15], s[4:5], v[4:5]
	v_add_f64 v[6:7], v[6:7], v[131:132]
	v_add_f64 v[6:7], v[6:7], v[36:37]
	;; [unrolled: 1-line block ×4, first 2 shown]
	v_add_f64 v[36:37], v[36:37], -v[40:41]
	v_fma_f64 v[6:7], v[6:7], -0.5, v[2:3]
	v_add_f64 v[36:37], v[50:51], v[36:37]
	v_add_f64 v[50:51], v[139:140], -v[143:144]
	v_fma_f64 v[10:11], v[38:39], s[2:3], v[6:7]
	v_fma_f64 v[6:7], v[38:39], s[14:15], v[6:7]
	;; [unrolled: 1-line block ×6, first 2 shown]
	v_add_f64 v[6:7], v[127:128], v[40:41]
	v_fma_f64 v[6:7], v[6:7], -0.5, v[2:3]
	v_fma_f64 v[2:3], v[48:49], s[14:15], v[6:7]
	v_fma_f64 v[6:7], v[48:49], s[2:3], v[6:7]
	;; [unrolled: 1-line block ×4, first 2 shown]
	v_add_f64 v[38:39], v[135:136], -v[145:146]
	v_fma_f64 v[2:3], v[36:37], s[4:5], v[2:3]
	v_fma_f64 v[6:7], v[36:37], s[4:5], v[6:7]
	v_add_f64 v[36:37], v[32:33], v[42:43]
	s_waitcnt vmcnt(0)
	ds_write_b128 v20, v[12:15]
	ds_write_b128 v20, v[8:11] offset:48
	ds_write_b128 v20, v[0:3] offset:96
	;; [unrolled: 1-line block ×4, first 2 shown]
	buffer_load_dword v0, off, s[28:31], 0 offset:1468 ; 4-byte Folded Reload
	v_add_f64 v[36:37], v[36:37], v[137:138]
	v_add_f64 v[36:37], v[36:37], v[141:142]
	;; [unrolled: 1-line block ×4, first 2 shown]
	v_fma_f64 v[36:37], v[36:37], -0.5, v[32:33]
	v_fma_f64 v[40:41], v[38:39], s[14:15], v[36:37]
	v_fma_f64 v[36:37], v[38:39], s[2:3], v[36:37]
	;; [unrolled: 1-line block ×6, first 2 shown]
	v_add_f64 v[36:37], v[42:43], v[54:55]
	v_fma_f64 v[36:37], v[36:37], -0.5, v[32:33]
	v_fma_f64 v[32:33], v[50:51], s[2:3], v[36:37]
	v_fma_f64 v[36:37], v[50:51], s[14:15], v[36:37]
	;; [unrolled: 1-line block ×4, first 2 shown]
	v_add_f64 v[38:39], v[34:35], v[135:136]
	v_fma_f64 v[32:33], v[60:61], s[4:5], v[32:33]
	v_fma_f64 v[36:37], v[60:61], s[4:5], v[36:37]
	v_add_f64 v[38:39], v[38:39], v[139:140]
	v_add_f64 v[60:61], v[42:43], -v[54:55]
	v_add_f64 v[54:55], v[135:136], -v[139:140]
	v_add_f64 v[38:39], v[38:39], v[143:144]
	v_add_f64 v[54:55], v[54:55], v[115:116]
	v_add_f64 v[115:116], v[139:140], -v[135:136]
	v_add_f64 v[50:51], v[38:39], v[145:146]
	v_add_f64 v[38:39], v[139:140], v[143:144]
	;; [unrolled: 1-line block ×3, first 2 shown]
	v_fma_f64 v[38:39], v[38:39], -0.5, v[34:35]
	v_fma_f64 v[42:43], v[60:61], s[2:3], v[38:39]
	v_fma_f64 v[38:39], v[60:61], s[14:15], v[38:39]
	;; [unrolled: 1-line block ×6, first 2 shown]
	v_add_f64 v[38:39], v[135:136], v[145:146]
	v_fma_f64 v[38:39], v[38:39], -0.5, v[34:35]
	v_fma_f64 v[34:35], v[62:63], s[14:15], v[38:39]
	v_fma_f64 v[38:39], v[62:63], s[2:3], v[38:39]
	v_add_f64 v[62:63], v[151:152], v[74:75]
	v_fma_f64 v[34:35], v[60:61], s[8:9], v[34:35]
	v_fma_f64 v[38:39], v[60:61], s[6:7], v[38:39]
	v_fma_f64 v[62:63], v[62:63], -0.5, v[68:69]
	v_add_f64 v[60:61], v[68:69], v[147:148]
	v_fma_f64 v[34:35], v[115:116], s[4:5], v[34:35]
	v_fma_f64 v[38:39], v[115:116], s[4:5], v[38:39]
	v_add_f64 v[115:116], v[149:150], -v[80:81]
	v_add_f64 v[60:61], v[60:61], v[151:152]
	s_waitcnt vmcnt(0)
	ds_write_b128 v0, v[48:51]
	ds_write_b128 v0, v[40:43] offset:48
	ds_write_b128 v0, v[32:35] offset:96
	;; [unrolled: 1-line block ×4, first 2 shown]
	buffer_load_dword v0, off, s[28:31], 0 offset:1268 ; 4-byte Folded Reload
	v_fma_f64 v[117:118], v[115:116], s[14:15], v[62:63]
	v_fma_f64 v[62:63], v[115:116], s[2:3], v[62:63]
	v_add_f64 v[60:61], v[60:61], v[74:75]
	v_fma_f64 v[117:118], v[119:120], s[6:7], v[117:118]
	v_fma_f64 v[62:63], v[119:120], s[8:9], v[62:63]
	v_add_f64 v[60:61], v[60:61], v[78:79]
	;; [unrolled: 3-line block ×3, first 2 shown]
	v_add_f64 v[117:118], v[151:152], -v[147:148]
	v_add_f64 v[121:122], v[74:75], -v[78:79]
	;; [unrolled: 1-line block ×4, first 2 shown]
	v_fma_f64 v[62:63], v[62:63], -0.5, v[68:69]
	v_add_f64 v[117:118], v[117:118], v[121:122]
	v_fma_f64 v[68:69], v[119:120], s[2:3], v[62:63]
	v_fma_f64 v[62:63], v[119:120], s[14:15], v[62:63]
	v_add_f64 v[119:120], v[80:81], -v[76:77]
	v_fma_f64 v[68:69], v[115:116], s[6:7], v[68:69]
	v_fma_f64 v[62:63], v[115:116], s[8:9], v[62:63]
	;; [unrolled: 1-line block ×3, first 2 shown]
	v_add_f64 v[68:69], v[72:73], v[76:77]
	v_fma_f64 v[244:245], v[117:118], s[4:5], v[62:63]
	v_add_f64 v[117:118], v[149:150], -v[72:73]
	v_add_f64 v[62:63], v[70:71], v[149:150]
	v_fma_f64 v[68:69], v[68:69], -0.5, v[70:71]
	v_add_f64 v[117:118], v[117:118], v[119:120]
	v_add_f64 v[62:63], v[62:63], v[72:73]
	v_add_f64 v[72:73], v[72:73], -v[149:150]
	v_fma_f64 v[115:116], v[78:79], s[2:3], v[68:69]
	v_fma_f64 v[68:69], v[78:79], s[14:15], v[68:69]
	v_add_f64 v[62:63], v[62:63], v[76:77]
	v_add_f64 v[76:77], v[76:77], -v[80:81]
	v_fma_f64 v[115:116], v[74:75], s[8:9], v[115:116]
	v_fma_f64 v[68:69], v[74:75], s[6:7], v[68:69]
	v_add_f64 v[62:63], v[62:63], v[80:81]
	v_add_f64 v[72:73], v[72:73], v[76:77]
	v_fma_f64 v[234:235], v[117:118], s[4:5], v[115:116]
	v_fma_f64 v[226:227], v[117:118], s[4:5], v[68:69]
	v_add_f64 v[68:69], v[149:150], v[80:81]
	v_add_f64 v[80:81], v[98:99], -v[94:95]
	v_add_f64 v[115:116], v[94:95], -v[98:99]
	;; [unrolled: 1-line block ×3, first 2 shown]
	v_fma_f64 v[68:69], v[68:69], -0.5, v[70:71]
	v_fma_f64 v[70:71], v[74:75], s[14:15], v[68:69]
	v_fma_f64 v[68:69], v[74:75], s[2:3], v[68:69]
	v_add_f64 v[74:75], v[92:93], -v[96:97]
	v_fma_f64 v[70:71], v[78:79], s[8:9], v[70:71]
	v_fma_f64 v[68:69], v[78:79], s[6:7], v[68:69]
	v_add_f64 v[78:79], v[82:83], -v[90:91]
	v_fma_f64 v[250:251], v[72:73], s[4:5], v[70:71]
	v_fma_f64 v[246:247], v[72:73], s[4:5], v[68:69]
	v_add_f64 v[68:69], v[64:65], v[82:83]
	v_add_f64 v[70:71], v[88:89], -v[153:154]
	v_add_f64 v[78:79], v[78:79], v[80:81]
	s_waitcnt vmcnt(0)
	ds_write_b128 v0, v[60:63]
	ds_write_b128 v0, v[232:235] offset:48
	ds_write_b128 v0, v[248:251] offset:96
	;; [unrolled: 1-line block ×4, first 2 shown]
	buffer_load_dword v0, off, s[28:31], 0 offset:924 ; 4-byte Folded Reload
	v_add_f64 v[68:69], v[68:69], v[90:91]
	v_add_f64 v[68:69], v[68:69], v[94:95]
	;; [unrolled: 1-line block ×4, first 2 shown]
	v_fma_f64 v[68:69], v[68:69], -0.5, v[64:65]
	v_fma_f64 v[72:73], v[70:71], s[14:15], v[68:69]
	v_fma_f64 v[68:69], v[70:71], s[2:3], v[68:69]
	;; [unrolled: 1-line block ×6, first 2 shown]
	v_add_f64 v[68:69], v[82:83], v[98:99]
	v_add_f64 v[78:79], v[90:91], -v[82:83]
	v_add_f64 v[98:99], v[82:83], -v[98:99]
	;; [unrolled: 1-line block ×5, first 2 shown]
	v_fma_f64 v[68:69], v[68:69], -0.5, v[64:65]
	v_add_f64 v[78:79], v[78:79], v[115:116]
	v_add_f64 v[115:116], v[111:112], -v[109:110]
	v_add_f64 v[82:83], v[82:83], v[94:95]
	v_add_f64 v[94:95], v[100:101], -v[113:114]
	v_fma_f64 v[64:65], v[74:75], s[2:3], v[68:69]
	v_fma_f64 v[68:69], v[74:75], s[14:15], v[68:69]
	;; [unrolled: 1-line block ×4, first 2 shown]
	v_add_f64 v[70:71], v[66:67], v[88:89]
	v_fma_f64 v[64:65], v[78:79], s[4:5], v[64:65]
	v_fma_f64 v[68:69], v[78:79], s[4:5], v[68:69]
	v_add_f64 v[70:71], v[70:71], v[92:93]
	v_add_f64 v[70:71], v[70:71], v[96:97]
	v_add_f64 v[78:79], v[70:71], v[153:154]
	v_add_f64 v[70:71], v[92:93], v[96:97]
	v_fma_f64 v[70:71], v[70:71], -0.5, v[66:67]
	v_fma_f64 v[74:75], v[98:99], s[2:3], v[70:71]
	v_fma_f64 v[70:71], v[98:99], s[14:15], v[70:71]
	;; [unrolled: 1-line block ×6, first 2 shown]
	v_add_f64 v[70:71], v[88:89], v[153:154]
	v_add_f64 v[88:89], v[92:93], -v[88:89]
	v_add_f64 v[92:93], v[96:97], -v[153:154]
	;; [unrolled: 1-line block ×3, first 2 shown]
	v_fma_f64 v[70:71], v[70:71], -0.5, v[66:67]
	v_add_f64 v[88:89], v[88:89], v[92:93]
	v_add_f64 v[96:97], v[96:97], v[115:116]
	v_add_f64 v[115:116], v[107:108], -v[170:171]
	v_fma_f64 v[66:67], v[90:91], s[14:15], v[70:71]
	v_fma_f64 v[70:71], v[90:91], s[2:3], v[70:71]
	v_add_f64 v[115:116], v[115:116], v[117:118]
	v_fma_f64 v[66:67], v[98:99], s[8:9], v[66:67]
	v_fma_f64 v[70:71], v[98:99], s[6:7], v[70:71]
	v_add_f64 v[98:99], v[102:103], -v[104:105]
	v_fma_f64 v[66:67], v[88:89], s[4:5], v[66:67]
	v_fma_f64 v[70:71], v[88:89], s[4:5], v[70:71]
	v_add_f64 v[88:89], v[84:85], v[170:171]
	s_waitcnt vmcnt(0)
	ds_write_b128 v0, v[76:79]
	ds_write_b128 v0, v[72:75] offset:48
	ds_write_b128 v0, v[64:67] offset:96
	;; [unrolled: 1-line block ×4, first 2 shown]
	buffer_load_dword v0, off, s[28:31], 0 offset:660 ; 4-byte Folded Reload
	v_add_f64 v[88:89], v[88:89], v[107:108]
	v_add_f64 v[88:89], v[88:89], v[109:110]
	;; [unrolled: 1-line block ×4, first 2 shown]
	v_add_f64 v[107:108], v[107:108], -v[109:110]
	v_add_f64 v[109:110], v[100:101], -v[102:103]
	v_fma_f64 v[90:91], v[88:89], -0.5, v[84:85]
	v_fma_f64 v[88:89], v[94:95], s[14:15], v[90:91]
	v_fma_f64 v[90:91], v[94:95], s[2:3], v[90:91]
	;; [unrolled: 1-line block ×6, first 2 shown]
	v_add_f64 v[90:91], v[170:171], v[111:112]
	v_add_f64 v[111:112], v[170:171], -v[111:112]
	v_fma_f64 v[84:85], v[90:91], -0.5, v[84:85]
	v_fma_f64 v[90:91], v[98:99], s[2:3], v[84:85]
	v_fma_f64 v[84:85], v[98:99], s[14:15], v[84:85]
	;; [unrolled: 1-line block ×5, first 2 shown]
	v_add_f64 v[90:91], v[86:87], v[100:101]
	v_fma_f64 v[84:85], v[115:116], s[4:5], v[84:85]
	v_add_f64 v[115:116], v[113:114], -v[104:105]
	v_add_f64 v[90:91], v[90:91], v[102:103]
	v_add_f64 v[109:110], v[109:110], v[115:116]
	;; [unrolled: 1-line block ×5, first 2 shown]
	v_fma_f64 v[98:99], v[90:91], -0.5, v[86:87]
	v_fma_f64 v[90:91], v[111:112], s[2:3], v[98:99]
	v_fma_f64 v[98:99], v[111:112], s[14:15], v[98:99]
	;; [unrolled: 1-line block ×6, first 2 shown]
	v_add_f64 v[109:110], v[100:101], v[113:114]
	v_add_f64 v[100:101], v[102:103], -v[100:101]
	v_add_f64 v[102:103], v[104:105], -v[113:114]
	v_fma_f64 v[86:87], v[109:110], -0.5, v[86:87]
	v_add_f64 v[100:101], v[100:101], v[102:103]
	v_fma_f64 v[109:110], v[107:108], s[14:15], v[86:87]
	v_fma_f64 v[86:87], v[107:108], s[2:3], v[86:87]
	;; [unrolled: 1-line block ×6, first 2 shown]
	s_waitcnt vmcnt(0)
	ds_write_b128 v0, v[92:95]
	ds_write_b128 v0, v[88:91] offset:48
	ds_write_b128 v0, v[176:179] offset:96
	;; [unrolled: 1-line block ×4, first 2 shown]
	s_waitcnt lgkmcnt(0)
	s_barrier
	ds_read_b128 v[20:23], v106
	ds_read_b128 v[24:27], v106 offset:12000
	ds_read_b128 v[28:31], v106 offset:24000
	ds_read_b128 v[32:35], v106 offset:36000
	ds_read_b128 v[36:39], v106 offset:48000
	ds_read_b128 v[16:19], v106 offset:2000
	ds_read_b128 v[40:43], v106 offset:14000
	ds_read_b128 v[44:47], v106 offset:26000
	ds_read_b128 v[48:51], v106 offset:38000
	ds_read_b128 v[52:55], v106 offset:50000
	ds_read_b128 v[8:11], v106 offset:4000
	ds_read_b128 v[56:59], v106 offset:16000
	ds_read_b128 v[60:63], v106 offset:28000
	ds_read_b128 v[64:67], v106 offset:40000
	ds_read_b128 v[68:71], v106 offset:52000
	ds_read_b128 v[4:7], v106 offset:6000
	ds_read_b128 v[72:75], v106 offset:18000
	ds_read_b128 v[76:79], v106 offset:30000
	ds_read_b128 v[80:83], v106 offset:42000
	ds_read_b128 v[84:87], v106 offset:54000
	ds_read_b128 v[0:3], v106 offset:8000
	ds_read_b128 v[88:91], v106 offset:20000
	ds_read_b128 v[92:95], v106 offset:32000
	ds_read_b128 v[96:99], v106 offset:44000
	ds_read_b128 v[100:103], v106 offset:56000
	ds_read_b128 v[12:15], v106 offset:10000
	ds_read_b128 v[107:110], v106 offset:22000
	ds_read_b128 v[111:114], v106 offset:34000
	ds_read_b128 v[115:118], v106 offset:46000
	ds_read_b128 v[119:122], v106 offset:58000
	buffer_load_dword v123, off, s[28:31], 0 offset:668 ; 4-byte Folded Reload
	buffer_load_dword v124, off, s[28:31], 0 offset:672 ; 4-byte Folded Reload
	;; [unrolled: 1-line block ×4, first 2 shown]
	s_waitcnt vmcnt(0) lgkmcnt(14)
	v_mul_f64 v[104:105], v[125:126], v[26:27]
	v_fma_f64 v[104:105], v[123:124], v[24:25], v[104:105]
	v_mul_f64 v[24:25], v[125:126], v[24:25]
	v_fma_f64 v[24:25], v[123:124], v[26:27], -v[24:25]
	buffer_load_dword v123, off, s[28:31], 0 offset:684 ; 4-byte Folded Reload
	buffer_load_dword v124, off, s[28:31], 0 offset:688 ; 4-byte Folded Reload
	buffer_load_dword v125, off, s[28:31], 0 offset:692 ; 4-byte Folded Reload
	buffer_load_dword v126, off, s[28:31], 0 offset:696 ; 4-byte Folded Reload
	s_waitcnt vmcnt(0)
	v_mul_f64 v[26:27], v[125:126], v[30:31]
	v_fma_f64 v[26:27], v[123:124], v[28:29], v[26:27]
	v_mul_f64 v[28:29], v[125:126], v[28:29]
	v_fma_f64 v[28:29], v[123:124], v[30:31], -v[28:29]
	buffer_load_dword v123, off, s[28:31], 0 offset:700 ; 4-byte Folded Reload
	buffer_load_dword v124, off, s[28:31], 0 offset:704 ; 4-byte Folded Reload
	buffer_load_dword v125, off, s[28:31], 0 offset:708 ; 4-byte Folded Reload
	buffer_load_dword v126, off, s[28:31], 0 offset:712 ; 4-byte Folded Reload
	s_waitcnt vmcnt(0)
	v_mul_f64 v[30:31], v[125:126], v[34:35]
	v_fma_f64 v[30:31], v[123:124], v[32:33], v[30:31]
	v_mul_f64 v[32:33], v[125:126], v[32:33]
	v_fma_f64 v[32:33], v[123:124], v[34:35], -v[32:33]
	buffer_load_dword v123, off, s[28:31], 0 offset:716 ; 4-byte Folded Reload
	buffer_load_dword v124, off, s[28:31], 0 offset:720 ; 4-byte Folded Reload
	buffer_load_dword v125, off, s[28:31], 0 offset:724 ; 4-byte Folded Reload
	buffer_load_dword v126, off, s[28:31], 0 offset:728 ; 4-byte Folded Reload
	s_waitcnt vmcnt(0)
	v_mul_f64 v[34:35], v[125:126], v[38:39]
	v_fma_f64 v[34:35], v[123:124], v[36:37], v[34:35]
	v_mul_f64 v[36:37], v[125:126], v[36:37]
	v_fma_f64 v[36:37], v[123:124], v[38:39], -v[36:37]
	buffer_load_dword v123, off, s[28:31], 0 offset:796 ; 4-byte Folded Reload
	buffer_load_dword v124, off, s[28:31], 0 offset:800 ; 4-byte Folded Reload
	;; [unrolled: 1-line block ×8, first 2 shown]
	s_waitcnt vmcnt(4)
	v_mul_f64 v[38:39], v[125:126], v[42:43]
	v_fma_f64 v[38:39], v[123:124], v[40:41], v[38:39]
	v_mul_f64 v[40:41], v[125:126], v[40:41]
	v_fma_f64 v[123:124], v[123:124], v[42:43], -v[40:41]
	s_waitcnt vmcnt(0)
	v_mul_f64 v[40:41], v[129:130], v[46:47]
	v_add_f64 v[42:43], v[26:27], v[30:31]
	v_fma_f64 v[125:126], v[127:128], v[44:45], v[40:41]
	v_mul_f64 v[40:41], v[129:130], v[44:45]
	v_fma_f64 v[42:43], v[42:43], -0.5, v[20:21]
	v_fma_f64 v[44:45], v[127:128], v[46:47], -v[40:41]
	buffer_load_dword v127, off, s[28:31], 0 offset:860 ; 4-byte Folded Reload
	buffer_load_dword v128, off, s[28:31], 0 offset:864 ; 4-byte Folded Reload
	buffer_load_dword v129, off, s[28:31], 0 offset:868 ; 4-byte Folded Reload
	buffer_load_dword v130, off, s[28:31], 0 offset:872 ; 4-byte Folded Reload
	s_waitcnt vmcnt(0)
	v_mul_f64 v[40:41], v[129:130], v[50:51]
	v_fma_f64 v[46:47], v[127:128], v[48:49], v[40:41]
	v_mul_f64 v[40:41], v[129:130], v[48:49]
	v_fma_f64 v[127:128], v[127:128], v[50:51], -v[40:41]
	buffer_load_dword v48, off, s[28:31], 0 offset:892 ; 4-byte Folded Reload
	buffer_load_dword v49, off, s[28:31], 0 offset:896 ; 4-byte Folded Reload
	buffer_load_dword v50, off, s[28:31], 0 offset:900 ; 4-byte Folded Reload
	buffer_load_dword v51, off, s[28:31], 0 offset:904 ; 4-byte Folded Reload
	s_waitcnt vmcnt(0)
	v_mul_f64 v[40:41], v[50:51], v[54:55]
	v_fma_f64 v[129:130], v[48:49], v[52:53], v[40:41]
	v_mul_f64 v[40:41], v[50:51], v[52:53]
	;; [unrolled: 9-line block ×3, first 2 shown]
	v_add_f64 v[56:57], v[28:29], -v[32:33]
	v_fma_f64 v[58:59], v[48:49], v[58:59], -v[40:41]
	buffer_load_dword v48, off, s[28:31], 0 offset:1092 ; 4-byte Folded Reload
	buffer_load_dword v49, off, s[28:31], 0 offset:1096 ; 4-byte Folded Reload
	;; [unrolled: 1-line block ×4, first 2 shown]
	s_waitcnt vmcnt(0)
	v_mul_f64 v[40:41], v[50:51], v[62:63]
	v_fma_f64 v[131:132], v[48:49], v[60:61], v[40:41]
	v_mul_f64 v[40:41], v[50:51], v[60:61]
	v_add_f64 v[60:61], v[104:105], -v[26:27]
	v_fma_f64 v[62:63], v[48:49], v[62:63], -v[40:41]
	buffer_load_dword v48, off, s[28:31], 0 offset:1108 ; 4-byte Folded Reload
	buffer_load_dword v49, off, s[28:31], 0 offset:1112 ; 4-byte Folded Reload
	;; [unrolled: 1-line block ×4, first 2 shown]
	s_waitcnt vmcnt(0)
	v_mul_f64 v[40:41], v[50:51], v[66:67]
	v_fma_f64 v[133:134], v[48:49], v[64:65], v[40:41]
	v_mul_f64 v[40:41], v[50:51], v[64:65]
	v_add_f64 v[64:65], v[34:35], -v[30:31]
	v_fma_f64 v[135:136], v[48:49], v[66:67], -v[40:41]
	buffer_load_dword v48, off, s[28:31], 0 offset:1124 ; 4-byte Folded Reload
	buffer_load_dword v49, off, s[28:31], 0 offset:1128 ; 4-byte Folded Reload
	;; [unrolled: 1-line block ×4, first 2 shown]
	v_add_f64 v[60:61], v[60:61], v[64:65]
	v_add_f64 v[66:67], v[30:31], -v[34:35]
	s_waitcnt vmcnt(0)
	v_mul_f64 v[40:41], v[50:51], v[70:71]
	v_fma_f64 v[137:138], v[48:49], v[68:69], v[40:41]
	v_mul_f64 v[40:41], v[50:51], v[68:69]
	v_fma_f64 v[139:140], v[48:49], v[70:71], -v[40:41]
	buffer_load_dword v48, off, s[28:31], 0 offset:1188 ; 4-byte Folded Reload
	buffer_load_dword v49, off, s[28:31], 0 offset:1192 ; 4-byte Folded Reload
	buffer_load_dword v50, off, s[28:31], 0 offset:1196 ; 4-byte Folded Reload
	buffer_load_dword v51, off, s[28:31], 0 offset:1200 ; 4-byte Folded Reload
	s_waitcnt vmcnt(0) lgkmcnt(13)
	v_mul_f64 v[40:41], v[50:51], v[74:75]
	v_fma_f64 v[141:142], v[48:49], v[72:73], v[40:41]
	v_mul_f64 v[40:41], v[50:51], v[72:73]
	v_fma_f64 v[143:144], v[48:49], v[74:75], -v[40:41]
	buffer_load_dword v48, off, s[28:31], 0 offset:1204 ; 4-byte Folded Reload
	buffer_load_dword v49, off, s[28:31], 0 offset:1208 ; 4-byte Folded Reload
	buffer_load_dword v50, off, s[28:31], 0 offset:1212 ; 4-byte Folded Reload
	buffer_load_dword v51, off, s[28:31], 0 offset:1216 ; 4-byte Folded Reload
	s_waitcnt vmcnt(0) lgkmcnt(12)
	;; [unrolled: 9-line block ×8, first 2 shown]
	s_barrier
	v_mul_f64 v[40:41], v[50:51], v[102:103]
	v_fma_f64 v[248:249], v[48:49], v[100:101], v[40:41]
	v_mul_f64 v[40:41], v[50:51], v[100:101]
	v_add_f64 v[50:51], v[24:25], -v[36:37]
	v_fma_f64 v[102:103], v[48:49], v[102:103], -v[40:41]
	v_mul_f64 v[40:41], v[186:187], v[109:110]
	v_fma_f64 v[48:49], v[50:51], s[14:15], v[42:43]
	v_fma_f64 v[42:43], v[50:51], s[2:3], v[42:43]
	;; [unrolled: 1-line block ×3, first 2 shown]
	v_mul_f64 v[40:41], v[186:187], v[107:108]
	v_fma_f64 v[48:49], v[56:57], s[6:7], v[48:49]
	v_fma_f64 v[42:43], v[56:57], s[8:9], v[42:43]
	v_fma_f64 v[96:97], v[184:185], v[109:110], -v[40:41]
	v_mul_f64 v[40:41], v[190:191], v[113:114]
	v_fma_f64 v[64:65], v[60:61], s[4:5], v[48:49]
	v_fma_f64 v[48:49], v[60:61], s[4:5], v[42:43]
	v_add_f64 v[42:43], v[104:105], v[34:35]
	v_add_f64 v[60:61], v[26:27], -v[104:105]
	v_fma_f64 v[107:108], v[188:189], v[111:112], v[40:41]
	v_mul_f64 v[40:41], v[190:191], v[111:112]
	v_add_f64 v[60:61], v[60:61], v[66:67]
	v_fma_f64 v[98:99], v[188:189], v[113:114], -v[40:41]
	v_mul_f64 v[40:41], v[194:195], v[117:118]
	v_fma_f64 v[109:110], v[192:193], v[115:116], v[40:41]
	v_mul_f64 v[40:41], v[194:195], v[115:116]
	v_fma_f64 v[100:101], v[192:193], v[117:118], -v[40:41]
	v_mul_f64 v[40:41], v[202:203], v[121:122]
	v_fma_f64 v[111:112], v[200:201], v[119:120], v[40:41]
	v_mul_f64 v[40:41], v[202:203], v[119:120]
	v_fma_f64 v[113:114], v[200:201], v[121:122], -v[40:41]
	v_add_f64 v[40:41], v[20:21], v[104:105]
	v_fma_f64 v[20:21], v[42:43], -0.5, v[20:21]
	v_add_f64 v[40:41], v[40:41], v[26:27]
	v_fma_f64 v[42:43], v[56:57], s[2:3], v[20:21]
	v_fma_f64 v[20:21], v[56:57], s[14:15], v[20:21]
	v_add_f64 v[26:27], v[26:27], -v[30:31]
	v_add_f64 v[56:57], v[36:37], -v[32:33]
	v_add_f64 v[40:41], v[40:41], v[30:31]
	v_fma_f64 v[42:43], v[50:51], s[6:7], v[42:43]
	v_fma_f64 v[20:21], v[50:51], s[8:9], v[20:21]
	v_add_f64 v[40:41], v[40:41], v[34:35]
	v_fma_f64 v[72:73], v[60:61], s[4:5], v[42:43]
	v_fma_f64 v[68:69], v[60:61], s[4:5], v[20:21]
	v_add_f64 v[20:21], v[22:23], v[24:25]
	v_add_f64 v[34:35], v[104:105], -v[34:35]
	v_add_f64 v[104:105], v[109:110], -v[111:112]
	v_add_f64 v[20:21], v[20:21], v[28:29]
	v_add_f64 v[20:21], v[20:21], v[32:33]
	;; [unrolled: 1-line block ×4, first 2 shown]
	v_fma_f64 v[20:21], v[20:21], -0.5, v[22:23]
	v_fma_f64 v[50:51], v[34:35], s[2:3], v[20:21]
	v_fma_f64 v[20:21], v[34:35], s[14:15], v[20:21]
	;; [unrolled: 1-line block ×3, first 2 shown]
	v_add_f64 v[50:51], v[24:25], -v[28:29]
	v_fma_f64 v[20:21], v[26:27], s[6:7], v[20:21]
	v_add_f64 v[50:51], v[50:51], v[56:57]
	v_fma_f64 v[66:67], v[50:51], s[4:5], v[30:31]
	v_fma_f64 v[50:51], v[50:51], s[4:5], v[20:21]
	v_add_f64 v[20:21], v[24:25], v[36:37]
	v_add_f64 v[24:25], v[28:29], -v[24:25]
	v_add_f64 v[28:29], v[32:33], -v[36:37]
	;; [unrolled: 1-line block ×3, first 2 shown]
	v_fma_f64 v[20:21], v[20:21], -0.5, v[22:23]
	v_add_f64 v[24:25], v[24:25], v[28:29]
	v_add_f64 v[28:29], v[38:39], -v[125:126]
	v_fma_f64 v[22:23], v[26:27], s[14:15], v[20:21]
	v_fma_f64 v[20:21], v[26:27], s[2:3], v[20:21]
	v_add_f64 v[26:27], v[44:45], -v[127:128]
	v_add_f64 v[28:29], v[28:29], v[30:31]
	v_fma_f64 v[22:23], v[34:35], s[8:9], v[22:23]
	v_fma_f64 v[20:21], v[34:35], s[6:7], v[20:21]
	v_fma_f64 v[74:75], v[24:25], s[4:5], v[22:23]
	v_fma_f64 v[70:71], v[24:25], s[4:5], v[20:21]
	v_add_f64 v[20:21], v[16:17], v[38:39]
	v_add_f64 v[22:23], v[123:124], -v[52:53]
	v_add_f64 v[20:21], v[20:21], v[125:126]
	v_add_f64 v[20:21], v[20:21], v[46:47]
	;; [unrolled: 1-line block ×4, first 2 shown]
	v_fma_f64 v[20:21], v[20:21], -0.5, v[16:17]
	v_fma_f64 v[24:25], v[22:23], s[14:15], v[20:21]
	v_fma_f64 v[20:21], v[22:23], s[2:3], v[20:21]
	;; [unrolled: 1-line block ×6, first 2 shown]
	v_add_f64 v[20:21], v[38:39], v[129:130]
	v_add_f64 v[24:25], v[125:126], -v[38:39]
	v_add_f64 v[28:29], v[46:47], -v[129:130]
	v_fma_f64 v[16:17], v[20:21], -0.5, v[16:17]
	v_add_f64 v[24:25], v[24:25], v[28:29]
	v_add_f64 v[28:29], v[52:53], -v[127:128]
	v_fma_f64 v[20:21], v[26:27], s[2:3], v[16:17]
	v_fma_f64 v[16:17], v[26:27], s[14:15], v[16:17]
	v_add_f64 v[26:27], v[123:124], -v[44:45]
	v_fma_f64 v[20:21], v[22:23], s[6:7], v[20:21]
	v_fma_f64 v[16:17], v[22:23], s[8:9], v[16:17]
	v_add_f64 v[26:27], v[26:27], v[28:29]
	v_fma_f64 v[92:93], v[24:25], s[4:5], v[20:21]
	v_fma_f64 v[88:89], v[24:25], s[4:5], v[16:17]
	v_add_f64 v[16:17], v[18:19], v[123:124]
	v_add_f64 v[20:21], v[38:39], -v[129:130]
	v_add_f64 v[24:25], v[125:126], -v[46:47]
	v_add_f64 v[16:17], v[16:17], v[44:45]
	v_add_f64 v[16:17], v[16:17], v[127:128]
	;; [unrolled: 1-line block ×4, first 2 shown]
	v_fma_f64 v[16:17], v[16:17], -0.5, v[18:19]
	v_fma_f64 v[22:23], v[20:21], s[2:3], v[16:17]
	v_fma_f64 v[16:17], v[20:21], s[14:15], v[16:17]
	;; [unrolled: 1-line block ×6, first 2 shown]
	v_add_f64 v[16:17], v[123:124], v[52:53]
	v_add_f64 v[22:23], v[44:45], -v[123:124]
	v_add_f64 v[26:27], v[127:128], -v[52:53]
	v_fma_f64 v[16:17], v[16:17], -0.5, v[18:19]
	v_add_f64 v[22:23], v[22:23], v[26:27]
	v_add_f64 v[26:27], v[137:138], -v[133:134]
	v_fma_f64 v[18:19], v[24:25], s[14:15], v[16:17]
	v_fma_f64 v[16:17], v[24:25], s[2:3], v[16:17]
	v_add_f64 v[24:25], v[54:55], -v[131:132]
	v_fma_f64 v[18:19], v[20:21], s[8:9], v[18:19]
	v_fma_f64 v[16:17], v[20:21], s[6:7], v[16:17]
	v_add_f64 v[24:25], v[24:25], v[26:27]
	v_fma_f64 v[94:95], v[22:23], s[4:5], v[18:19]
	v_fma_f64 v[90:91], v[22:23], s[4:5], v[16:17]
	v_add_f64 v[16:17], v[8:9], v[54:55]
	v_add_f64 v[18:19], v[58:59], -v[139:140]
	v_add_f64 v[22:23], v[62:63], -v[135:136]
	ds_write_b128 v159, v[40:43]
	ds_write_b128 v159, v[64:67] offset:240
	ds_write_b128 v159, v[72:75] offset:480
	;; [unrolled: 1-line block ×4, first 2 shown]
	ds_write_b128 v169, v[80:83]
	ds_write_b128 v169, v[84:87] offset:240
	ds_write_b128 v169, v[92:95] offset:480
	;; [unrolled: 1-line block ×4, first 2 shown]
	buffer_load_dword v40, off, s[28:31], 0 offset:1536 ; 4-byte Folded Reload
	v_add_f64 v[16:17], v[16:17], v[131:132]
	v_add_f64 v[16:17], v[16:17], v[133:134]
	;; [unrolled: 1-line block ×4, first 2 shown]
	v_fma_f64 v[16:17], v[16:17], -0.5, v[8:9]
	v_fma_f64 v[20:21], v[18:19], s[14:15], v[16:17]
	v_fma_f64 v[16:17], v[18:19], s[2:3], v[16:17]
	;; [unrolled: 1-line block ×6, first 2 shown]
	v_add_f64 v[16:17], v[54:55], v[137:138]
	v_add_f64 v[20:21], v[131:132], -v[54:55]
	v_add_f64 v[24:25], v[133:134], -v[137:138]
	v_fma_f64 v[8:9], v[16:17], -0.5, v[8:9]
	v_add_f64 v[20:21], v[20:21], v[24:25]
	v_add_f64 v[24:25], v[139:140], -v[135:136]
	v_fma_f64 v[16:17], v[22:23], s[2:3], v[8:9]
	v_fma_f64 v[8:9], v[22:23], s[14:15], v[8:9]
	v_add_f64 v[22:23], v[58:59], -v[62:63]
	v_fma_f64 v[16:17], v[18:19], s[6:7], v[16:17]
	v_fma_f64 v[8:9], v[18:19], s[8:9], v[8:9]
	v_add_f64 v[22:23], v[22:23], v[24:25]
	v_fma_f64 v[60:61], v[20:21], s[4:5], v[16:17]
	v_fma_f64 v[56:57], v[20:21], s[4:5], v[8:9]
	v_add_f64 v[8:9], v[10:11], v[58:59]
	v_add_f64 v[16:17], v[54:55], -v[137:138]
	v_add_f64 v[20:21], v[131:132], -v[133:134]
	v_add_f64 v[8:9], v[8:9], v[62:63]
	v_add_f64 v[8:9], v[8:9], v[135:136]
	;; [unrolled: 1-line block ×4, first 2 shown]
	v_fma_f64 v[8:9], v[8:9], -0.5, v[10:11]
	v_fma_f64 v[18:19], v[16:17], s[2:3], v[8:9]
	v_fma_f64 v[8:9], v[16:17], s[14:15], v[8:9]
	;; [unrolled: 1-line block ×6, first 2 shown]
	v_add_f64 v[8:9], v[58:59], v[139:140]
	v_add_f64 v[18:19], v[62:63], -v[58:59]
	v_add_f64 v[22:23], v[135:136], -v[139:140]
	v_fma_f64 v[8:9], v[8:9], -0.5, v[10:11]
	v_add_f64 v[18:19], v[18:19], v[22:23]
	v_add_f64 v[22:23], v[153:154], -v[149:150]
	v_fma_f64 v[10:11], v[20:21], s[14:15], v[8:9]
	v_fma_f64 v[8:9], v[20:21], s[2:3], v[8:9]
	v_add_f64 v[20:21], v[141:142], -v[145:146]
	v_fma_f64 v[10:11], v[16:17], s[8:9], v[10:11]
	v_fma_f64 v[8:9], v[16:17], s[6:7], v[8:9]
	v_add_f64 v[20:21], v[20:21], v[22:23]
	v_fma_f64 v[62:63], v[18:19], s[4:5], v[10:11]
	v_fma_f64 v[58:59], v[18:19], s[4:5], v[8:9]
	v_add_f64 v[8:9], v[4:5], v[141:142]
	v_add_f64 v[10:11], v[143:144], -v[170:171]
	v_add_f64 v[18:19], v[147:148], -v[151:152]
	s_waitcnt vmcnt(0)
	ds_write_b128 v40, v[44:47]
	ds_write_b128 v40, v[52:55] offset:240
	ds_write_b128 v40, v[60:63] offset:480
	ds_write_b128 v40, v[56:59] offset:720
	ds_write_b128 v40, v[200:203] offset:960
	buffer_load_dword v40, off, s[28:31], 0 offset:1320 ; 4-byte Folded Reload
	v_add_f64 v[8:9], v[8:9], v[145:146]
	v_add_f64 v[8:9], v[8:9], v[149:150]
	;; [unrolled: 1-line block ×4, first 2 shown]
	v_fma_f64 v[8:9], v[8:9], -0.5, v[4:5]
	v_fma_f64 v[16:17], v[10:11], s[14:15], v[8:9]
	v_fma_f64 v[8:9], v[10:11], s[2:3], v[8:9]
	;; [unrolled: 1-line block ×6, first 2 shown]
	v_add_f64 v[8:9], v[141:142], v[153:154]
	v_add_f64 v[16:17], v[145:146], -v[141:142]
	v_add_f64 v[20:21], v[149:150], -v[153:154]
	v_fma_f64 v[4:5], v[8:9], -0.5, v[4:5]
	v_add_f64 v[16:17], v[16:17], v[20:21]
	v_add_f64 v[20:21], v[170:171], -v[151:152]
	v_fma_f64 v[8:9], v[18:19], s[2:3], v[4:5]
	v_fma_f64 v[4:5], v[18:19], s[14:15], v[4:5]
	v_add_f64 v[18:19], v[143:144], -v[147:148]
	v_fma_f64 v[8:9], v[10:11], s[6:7], v[8:9]
	v_fma_f64 v[4:5], v[10:11], s[8:9], v[4:5]
	v_add_f64 v[18:19], v[18:19], v[20:21]
	v_fma_f64 v[192:193], v[16:17], s[4:5], v[8:9]
	v_fma_f64 v[188:189], v[16:17], s[4:5], v[4:5]
	v_add_f64 v[4:5], v[6:7], v[143:144]
	v_add_f64 v[8:9], v[141:142], -v[153:154]
	v_add_f64 v[16:17], v[145:146], -v[149:150]
	v_add_f64 v[4:5], v[4:5], v[147:148]
	v_add_f64 v[4:5], v[4:5], v[151:152]
	;; [unrolled: 1-line block ×4, first 2 shown]
	v_fma_f64 v[4:5], v[4:5], -0.5, v[6:7]
	v_fma_f64 v[10:11], v[8:9], s[2:3], v[4:5]
	v_fma_f64 v[4:5], v[8:9], s[14:15], v[4:5]
	;; [unrolled: 1-line block ×6, first 2 shown]
	v_add_f64 v[4:5], v[143:144], v[170:171]
	v_add_f64 v[10:11], v[147:148], -v[143:144]
	v_add_f64 v[18:19], v[151:152], -v[170:171]
	v_fma_f64 v[4:5], v[4:5], -0.5, v[6:7]
	v_add_f64 v[10:11], v[10:11], v[18:19]
	v_add_f64 v[18:19], v[248:249], -v[244:245]
	v_fma_f64 v[6:7], v[16:17], s[14:15], v[4:5]
	v_fma_f64 v[4:5], v[16:17], s[2:3], v[4:5]
	v_add_f64 v[16:17], v[224:225], -v[232:233]
	v_fma_f64 v[6:7], v[8:9], s[8:9], v[6:7]
	v_fma_f64 v[4:5], v[8:9], s[6:7], v[4:5]
	v_add_f64 v[16:17], v[16:17], v[18:19]
	v_add_f64 v[18:19], v[244:245], -v[248:249]
	v_fma_f64 v[194:195], v[10:11], s[4:5], v[6:7]
	v_fma_f64 v[190:191], v[10:11], s[4:5], v[4:5]
	v_add_f64 v[4:5], v[0:1], v[224:225]
	v_add_f64 v[6:7], v[226:227], -v[102:103]
	v_add_f64 v[10:11], v[234:235], -v[246:247]
	s_waitcnt vmcnt(0)
	ds_write_b128 v40, v[36:39]
	ds_write_b128 v40, v[184:187] offset:240
	ds_write_b128 v40, v[192:195] offset:480
	;; [unrolled: 1-line block ×4, first 2 shown]
	buffer_load_dword v36, off, s[28:31], 0 offset:1040 ; 4-byte Folded Reload
	v_add_f64 v[4:5], v[4:5], v[232:233]
	v_add_f64 v[4:5], v[4:5], v[244:245]
	;; [unrolled: 1-line block ×4, first 2 shown]
	v_fma_f64 v[4:5], v[4:5], -0.5, v[0:1]
	v_fma_f64 v[8:9], v[6:7], s[14:15], v[4:5]
	v_fma_f64 v[4:5], v[6:7], s[2:3], v[4:5]
	;; [unrolled: 1-line block ×6, first 2 shown]
	v_add_f64 v[4:5], v[224:225], v[248:249]
	v_add_f64 v[8:9], v[232:233], -v[224:225]
	v_fma_f64 v[0:1], v[4:5], -0.5, v[0:1]
	v_add_f64 v[8:9], v[8:9], v[18:19]
	v_add_f64 v[18:19], v[102:103], -v[246:247]
	v_fma_f64 v[4:5], v[10:11], s[2:3], v[0:1]
	v_fma_f64 v[0:1], v[10:11], s[14:15], v[0:1]
	v_add_f64 v[10:11], v[226:227], -v[234:235]
	v_fma_f64 v[4:5], v[6:7], s[6:7], v[4:5]
	v_fma_f64 v[0:1], v[6:7], s[8:9], v[0:1]
	v_add_f64 v[10:11], v[10:11], v[18:19]
	v_fma_f64 v[32:33], v[8:9], s[4:5], v[4:5]
	v_fma_f64 v[28:29], v[8:9], s[4:5], v[0:1]
	v_add_f64 v[0:1], v[2:3], v[226:227]
	v_add_f64 v[4:5], v[224:225], -v[248:249]
	v_add_f64 v[8:9], v[232:233], -v[244:245]
	v_add_f64 v[0:1], v[0:1], v[234:235]
	v_add_f64 v[0:1], v[0:1], v[246:247]
	;; [unrolled: 1-line block ×4, first 2 shown]
	v_fma_f64 v[0:1], v[0:1], -0.5, v[2:3]
	v_fma_f64 v[6:7], v[4:5], s[2:3], v[0:1]
	v_fma_f64 v[0:1], v[4:5], s[14:15], v[0:1]
	v_fma_f64 v[6:7], v[8:9], s[8:9], v[6:7]
	v_fma_f64 v[0:1], v[8:9], s[6:7], v[0:1]
	v_fma_f64 v[26:27], v[10:11], s[4:5], v[6:7]
	v_fma_f64 v[18:19], v[10:11], s[4:5], v[0:1]
	v_add_f64 v[0:1], v[226:227], v[102:103]
	v_add_f64 v[6:7], v[234:235], -v[226:227]
	v_add_f64 v[10:11], v[246:247], -v[102:103]
	;; [unrolled: 1-line block ×3, first 2 shown]
	v_fma_f64 v[0:1], v[0:1], -0.5, v[2:3]
	v_add_f64 v[6:7], v[6:7], v[10:11]
	v_add_f64 v[10:11], v[98:99], -v[100:101]
	v_fma_f64 v[2:3], v[8:9], s[14:15], v[0:1]
	v_fma_f64 v[0:1], v[8:9], s[2:3], v[0:1]
	v_add_f64 v[8:9], v[250:251], -v[107:108]
	v_fma_f64 v[2:3], v[4:5], s[8:9], v[2:3]
	v_fma_f64 v[0:1], v[4:5], s[6:7], v[0:1]
	v_add_f64 v[102:103], v[8:9], v[102:103]
	v_fma_f64 v[34:35], v[6:7], s[4:5], v[2:3]
	v_fma_f64 v[30:31], v[6:7], s[4:5], v[0:1]
	v_add_f64 v[0:1], v[12:13], v[250:251]
	v_add_f64 v[2:3], v[96:97], -v[113:114]
	s_waitcnt vmcnt(0)
	ds_write_b128 v36, v[20:23]
	ds_write_b128 v36, v[24:27] offset:240
	ds_write_b128 v36, v[32:35] offset:480
	;; [unrolled: 1-line block ×4, first 2 shown]
	buffer_load_dword v16, off, s[28:31], 0 offset:664 ; 4-byte Folded Reload
	v_add_f64 v[0:1], v[0:1], v[107:108]
	v_add_f64 v[0:1], v[0:1], v[109:110]
	;; [unrolled: 1-line block ×4, first 2 shown]
	v_fma_f64 v[0:1], v[0:1], -0.5, v[12:13]
	v_fma_f64 v[6:7], v[2:3], s[14:15], v[0:1]
	v_fma_f64 v[0:1], v[2:3], s[2:3], v[0:1]
	;; [unrolled: 1-line block ×5, first 2 shown]
	v_add_f64 v[6:7], v[250:251], v[111:112]
	v_fma_f64 v[0:1], v[102:103], s[4:5], v[0:1]
	v_add_f64 v[102:103], v[107:108], -v[250:251]
	v_fma_f64 v[6:7], v[6:7], -0.5, v[12:13]
	v_add_f64 v[102:103], v[102:103], v[104:105]
	v_add_f64 v[104:105], v[107:108], -v[109:110]
	v_add_f64 v[107:108], v[96:97], -v[98:99]
	;; [unrolled: 1-line block ×3, first 2 shown]
	v_fma_f64 v[12:13], v[10:11], s[2:3], v[6:7]
	v_fma_f64 v[6:7], v[10:11], s[14:15], v[6:7]
	v_add_f64 v[107:108], v[107:108], v[109:110]
	v_fma_f64 v[12:13], v[2:3], s[6:7], v[12:13]
	v_fma_f64 v[2:3], v[2:3], s[8:9], v[6:7]
	;; [unrolled: 1-line block ×4, first 2 shown]
	v_add_f64 v[2:3], v[14:15], v[96:97]
	v_add_f64 v[102:103], v[250:251], -v[111:112]
	v_add_f64 v[2:3], v[2:3], v[98:99]
	v_add_f64 v[2:3], v[2:3], v[100:101]
	;; [unrolled: 1-line block ×4, first 2 shown]
	v_fma_f64 v[2:3], v[2:3], -0.5, v[14:15]
	v_fma_f64 v[10:11], v[102:103], s[2:3], v[2:3]
	v_fma_f64 v[2:3], v[102:103], s[14:15], v[2:3]
	;; [unrolled: 1-line block ×6, first 2 shown]
	v_add_f64 v[107:108], v[96:97], v[113:114]
	v_add_f64 v[96:97], v[98:99], -v[96:97]
	v_add_f64 v[98:99], v[100:101], -v[113:114]
	v_fma_f64 v[14:15], v[107:108], -0.5, v[14:15]
	v_add_f64 v[96:97], v[96:97], v[98:99]
	v_fma_f64 v[107:108], v[104:105], s[14:15], v[14:15]
	v_fma_f64 v[14:15], v[104:105], s[2:3], v[14:15]
	;; [unrolled: 1-line block ×6, first 2 shown]
	s_waitcnt vmcnt(0)
	ds_write_b128 v16, v[4:7]
	ds_write_b128 v16, v[8:11] offset:240
	ds_write_b128 v16, v[132:135] offset:480
	;; [unrolled: 1-line block ×4, first 2 shown]
	s_waitcnt lgkmcnt(0)
	s_barrier
	ds_read_b128 v[8:11], v106
	ds_read_b128 v[12:15], v106 offset:6000
	ds_read_b128 v[16:19], v106 offset:12000
	;; [unrolled: 1-line block ×29, first 2 shown]
	buffer_load_dword v74, off, s[28:31], 0 offset:812 ; 4-byte Folded Reload
	buffer_load_dword v75, off, s[28:31], 0 offset:816 ; 4-byte Folded Reload
	;; [unrolled: 1-line block ×4, first 2 shown]
	s_waitcnt vmcnt(0) lgkmcnt(14)
	v_mul_f64 v[72:73], v[76:77], v[14:15]
	v_fma_f64 v[104:105], v[74:75], v[12:13], v[72:73]
	v_mul_f64 v[12:13], v[76:77], v[12:13]
	v_fma_f64 v[151:152], v[74:75], v[14:15], -v[12:13]
	buffer_load_dword v72, off, s[28:31], 0 offset:844 ; 4-byte Folded Reload
	buffer_load_dword v73, off, s[28:31], 0 offset:848 ; 4-byte Folded Reload
	;; [unrolled: 1-line block ×4, first 2 shown]
	s_waitcnt lgkmcnt(7)
	v_mul_f64 v[14:15], v[214:215], v[121:122]
	s_waitcnt vmcnt(0)
	v_mul_f64 v[12:13], v[74:75], v[18:19]
	v_fma_f64 v[153:154], v[72:73], v[16:17], v[12:13]
	v_mul_f64 v[12:13], v[74:75], v[16:17]
	v_fma_f64 v[16:17], v[72:73], v[18:19], -v[12:13]
	buffer_load_dword v72, off, s[28:31], 0 offset:876 ; 4-byte Folded Reload
	buffer_load_dword v73, off, s[28:31], 0 offset:880 ; 4-byte Folded Reload
	buffer_load_dword v74, off, s[28:31], 0 offset:884 ; 4-byte Folded Reload
	buffer_load_dword v75, off, s[28:31], 0 offset:888 ; 4-byte Folded Reload
	s_waitcnt vmcnt(0)
	v_mul_f64 v[12:13], v[74:75], v[22:23]
	v_fma_f64 v[18:19], v[72:73], v[20:21], v[12:13]
	v_mul_f64 v[12:13], v[74:75], v[20:21]
	v_fma_f64 v[20:21], v[72:73], v[22:23], -v[12:13]
	buffer_load_dword v72, off, s[28:31], 0 offset:908 ; 4-byte Folded Reload
	buffer_load_dword v73, off, s[28:31], 0 offset:912 ; 4-byte Folded Reload
	buffer_load_dword v74, off, s[28:31], 0 offset:916 ; 4-byte Folded Reload
	buffer_load_dword v75, off, s[28:31], 0 offset:920 ; 4-byte Folded Reload
	;; [unrolled: 9-line block ×8, first 2 shown]
	s_waitcnt vmcnt(0)
	v_mul_f64 v[12:13], v[38:39], v[50:51]
	v_fma_f64 v[76:77], v[36:37], v[48:49], v[12:13]
	v_mul_f64 v[12:13], v[38:39], v[48:49]
	buffer_load_dword v38, off, s[28:31], 0 offset:1272 ; 4-byte Folded Reload
	buffer_load_dword v39, off, s[28:31], 0 offset:1276 ; 4-byte Folded Reload
	;; [unrolled: 1-line block ×4, first 2 shown]
	v_fma_f64 v[36:37], v[36:37], v[50:51], -v[12:13]
	s_waitcnt lgkmcnt(1)
	v_mul_f64 v[50:51], v[206:207], v[145:146]
	s_waitcnt vmcnt(0)
	v_mul_f64 v[12:13], v[40:41], v[54:55]
	v_fma_f64 v[92:93], v[38:39], v[52:53], v[12:13]
	v_mul_f64 v[12:13], v[40:41], v[52:53]
	v_fma_f64 v[88:89], v[38:39], v[54:55], -v[12:13]
	buffer_load_dword v38, off, s[28:31], 0 offset:1304 ; 4-byte Folded Reload
	buffer_load_dword v39, off, s[28:31], 0 offset:1308 ; 4-byte Folded Reload
	;; [unrolled: 1-line block ×4, first 2 shown]
	s_waitcnt vmcnt(0)
	v_mul_f64 v[12:13], v[40:41], v[58:59]
	v_fma_f64 v[74:75], v[38:39], v[56:57], v[12:13]
	v_mul_f64 v[12:13], v[40:41], v[56:57]
	buffer_load_dword v40, off, s[28:31], 0 offset:1288 ; 4-byte Folded Reload
	buffer_load_dword v41, off, s[28:31], 0 offset:1292 ; 4-byte Folded Reload
	buffer_load_dword v42, off, s[28:31], 0 offset:1296 ; 4-byte Folded Reload
	buffer_load_dword v43, off, s[28:31], 0 offset:1300 ; 4-byte Folded Reload
	v_fma_f64 v[38:39], v[38:39], v[58:59], -v[12:13]
	s_waitcnt vmcnt(0)
	v_mul_f64 v[12:13], v[42:43], v[62:63]
	v_fma_f64 v[94:95], v[40:41], v[60:61], v[12:13]
	v_mul_f64 v[12:13], v[42:43], v[60:61]
	v_fma_f64 v[60:61], v[212:213], v[119:120], v[14:15]
	v_mul_f64 v[14:15], v[214:215], v[119:120]
	v_add_f64 v[119:120], v[170:171], -v[30:31]
	v_fma_f64 v[90:91], v[40:41], v[62:63], -v[12:13]
	buffer_load_dword v40, off, s[28:31], 0 offset:1388 ; 4-byte Folded Reload
	buffer_load_dword v41, off, s[28:31], 0 offset:1392 ; 4-byte Folded Reload
	;; [unrolled: 1-line block ×4, first 2 shown]
	v_fma_f64 v[56:57], v[212:213], v[121:122], -v[14:15]
	v_add_f64 v[121:122], v[30:31], -v[170:171]
	s_waitcnt vmcnt(0)
	v_mul_f64 v[12:13], v[42:43], v[66:67]
	v_fma_f64 v[78:79], v[40:41], v[64:65], v[12:13]
	v_mul_f64 v[12:13], v[42:43], v[64:65]
	v_fma_f64 v[72:73], v[40:41], v[66:67], -v[12:13]
	buffer_load_dword v40, off, s[28:31], 0 offset:1404 ; 4-byte Folded Reload
	buffer_load_dword v41, off, s[28:31], 0 offset:1408 ; 4-byte Folded Reload
	;; [unrolled: 1-line block ×4, first 2 shown]
	s_waitcnt vmcnt(0)
	v_mul_f64 v[12:13], v[42:43], v[70:71]
	v_fma_f64 v[98:99], v[40:41], v[68:69], v[12:13]
	v_mul_f64 v[12:13], v[42:43], v[68:69]
	v_fma_f64 v[96:97], v[40:41], v[70:71], -v[12:13]
	buffer_load_dword v40, off, s[28:31], 0 offset:1436 ; 4-byte Folded Reload
	buffer_load_dword v41, off, s[28:31], 0 offset:1440 ; 4-byte Folded Reload
	;; [unrolled: 1-line block ×4, first 2 shown]
	v_fma_f64 v[70:71], v[204:205], v[143:144], v[50:51]
	v_mul_f64 v[50:51], v[206:207], v[143:144]
	v_fma_f64 v[66:67], v[204:205], v[145:146], -v[50:51]
	s_waitcnt lgkmcnt(0)
	v_mul_f64 v[50:51], v[162:163], v[149:150]
	v_fma_f64 v[54:55], v[160:161], v[147:148], v[50:51]
	v_mul_f64 v[50:51], v[162:163], v[147:148]
	v_fma_f64 v[50:51], v[160:161], v[149:150], -v[50:51]
	s_waitcnt vmcnt(0)
	v_mul_f64 v[12:13], v[42:43], v[86:87]
	v_fma_f64 v[82:83], v[40:41], v[84:85], v[12:13]
	v_mul_f64 v[12:13], v[42:43], v[84:85]
	v_fma_f64 v[80:81], v[40:41], v[86:87], -v[12:13]
	buffer_load_dword v40, off, s[28:31], 0 offset:1420 ; 4-byte Folded Reload
	buffer_load_dword v41, off, s[28:31], 0 offset:1424 ; 4-byte Folded Reload
	;; [unrolled: 1-line block ×4, first 2 shown]
	s_waitcnt vmcnt(0)
	v_mul_f64 v[12:13], v[42:43], v[109:110]
	v_fma_f64 v[102:103], v[40:41], v[107:108], v[12:13]
	v_mul_f64 v[12:13], v[42:43], v[107:108]
	v_add_f64 v[107:108], v[8:9], v[153:154]
	v_fma_f64 v[100:101], v[40:41], v[109:110], -v[12:13]
	buffer_load_dword v40, off, s[28:31], 0 offset:1452 ; 4-byte Folded Reload
	buffer_load_dword v41, off, s[28:31], 0 offset:1456 ; 4-byte Folded Reload
	;; [unrolled: 1-line block ×4, first 2 shown]
	v_add_f64 v[109:110], v[22:23], v[30:31]
	buffer_load_dword v46, off, s[28:31], 0 offset:1472 ; 4-byte Folded Reload
	buffer_load_dword v47, off, s[28:31], 0 offset:1476 ; 4-byte Folded Reload
	;; [unrolled: 1-line block ×4, first 2 shown]
	v_add_f64 v[107:108], v[107:108], v[22:23]
	v_fma_f64 v[109:110], v[109:110], -0.5, v[8:9]
	v_add_f64 v[107:108], v[107:108], v[30:31]
	v_add_f64 v[107:108], v[107:108], v[170:171]
	s_waitcnt vmcnt(4)
	v_mul_f64 v[12:13], v[42:43], v[113:114]
	s_waitcnt vmcnt(0)
	v_mul_f64 v[14:15], v[48:49], v[125:126]
	v_fma_f64 v[86:87], v[40:41], v[111:112], v[12:13]
	v_mul_f64 v[12:13], v[42:43], v[111:112]
	v_add_f64 v[111:112], v[16:17], -v[176:177]
	v_fma_f64 v[42:43], v[46:47], v[123:124], v[14:15]
	v_mul_f64 v[14:15], v[48:49], v[123:124]
	v_add_f64 v[123:124], v[176:177], -v[32:33]
	v_fma_f64 v[84:85], v[40:41], v[113:114], -v[12:13]
	v_mul_f64 v[12:13], v[210:211], v[117:118]
	v_fma_f64 v[113:114], v[111:112], s[14:15], v[109:110]
	v_fma_f64 v[109:110], v[111:112], s[2:3], v[109:110]
	v_fma_f64 v[14:15], v[46:47], v[125:126], -v[14:15]
	buffer_load_dword v46, off, s[28:31], 0 offset:1504 ; 4-byte Folded Reload
	buffer_load_dword v47, off, s[28:31], 0 offset:1508 ; 4-byte Folded Reload
	;; [unrolled: 1-line block ×4, first 2 shown]
	v_add_f64 v[125:126], v[178:179], -v[34:35]
	s_waitcnt vmcnt(0)
	s_barrier
	v_fma_f64 v[44:45], v[208:209], v[115:116], v[12:13]
	v_mul_f64 v[12:13], v[210:211], v[115:116]
	v_add_f64 v[115:116], v[24:25], -v[32:33]
	v_fma_f64 v[12:13], v[208:209], v[117:118], -v[12:13]
	v_add_f64 v[117:118], v[153:154], -v[22:23]
	v_fma_f64 v[113:114], v[115:116], s[6:7], v[113:114]
	v_fma_f64 v[109:110], v[115:116], s[8:9], v[109:110]
	v_add_f64 v[117:118], v[117:118], v[119:120]
	v_add_f64 v[119:120], v[22:23], -v[153:154]
	v_add_f64 v[22:23], v[22:23], -v[30:31]
	v_fma_f64 v[113:114], v[117:118], s[4:5], v[113:114]
	v_fma_f64 v[109:110], v[117:118], s[4:5], v[109:110]
	v_add_f64 v[117:118], v[153:154], v[170:171]
	v_add_f64 v[119:120], v[119:120], v[121:122]
	v_fma_f64 v[8:9], v[117:118], -0.5, v[8:9]
	v_fma_f64 v[117:118], v[115:116], s[2:3], v[8:9]
	v_fma_f64 v[8:9], v[115:116], s[14:15], v[8:9]
	;; [unrolled: 1-line block ×6, first 2 shown]
	v_add_f64 v[8:9], v[10:11], v[16:17]
	v_add_f64 v[119:120], v[153:154], -v[170:171]
	v_add_f64 v[8:9], v[8:9], v[24:25]
	v_mul_f64 v[40:41], v[48:49], v[129:130]
	v_add_f64 v[8:9], v[8:9], v[32:33]
	v_fma_f64 v[64:65], v[46:47], v[127:128], v[40:41]
	v_mul_f64 v[40:41], v[48:49], v[127:128]
	v_add_f64 v[115:116], v[8:9], v[176:177]
	v_add_f64 v[8:9], v[24:25], v[32:33]
	v_fma_f64 v[58:59], v[46:47], v[129:130], -v[40:41]
	v_mul_f64 v[40:41], v[166:167], v[133:134]
	v_fma_f64 v[8:9], v[8:9], -0.5, v[10:11]
	v_mul_f64 v[46:47], v[174:175], v[137:138]
	v_fma_f64 v[48:49], v[164:165], v[131:132], v[40:41]
	v_fma_f64 v[121:122], v[119:120], s[2:3], v[8:9]
	;; [unrolled: 1-line block ×3, first 2 shown]
	v_mul_f64 v[40:41], v[166:167], v[131:132]
	v_fma_f64 v[68:69], v[172:173], v[135:136], v[46:47]
	v_mul_f64 v[46:47], v[174:175], v[135:136]
	v_fma_f64 v[30:31], v[22:23], s[8:9], v[121:122]
	v_add_f64 v[121:122], v[16:17], -v[24:25]
	v_fma_f64 v[8:9], v[22:23], s[6:7], v[8:9]
	v_fma_f64 v[40:41], v[164:165], v[133:134], -v[40:41]
	v_fma_f64 v[62:63], v[172:173], v[137:138], -v[46:47]
	v_mul_f64 v[46:47], v[198:199], v[141:142]
	v_add_f64 v[121:122], v[121:122], v[123:124]
	v_fma_f64 v[52:53], v[196:197], v[139:140], v[46:47]
	v_mul_f64 v[46:47], v[198:199], v[139:140]
	v_fma_f64 v[123:124], v[121:122], s[4:5], v[30:31]
	v_add_f64 v[30:31], v[16:17], v[176:177]
	v_add_f64 v[16:17], v[24:25], -v[16:17]
	v_add_f64 v[24:25], v[32:33], -v[176:177]
	v_fma_f64 v[8:9], v[121:122], s[4:5], v[8:9]
	v_add_f64 v[32:33], v[18:19], -v[26:27]
	v_fma_f64 v[46:47], v[196:197], v[141:142], -v[46:47]
	v_fma_f64 v[10:11], v[30:31], -0.5, v[10:11]
	v_add_f64 v[16:17], v[16:17], v[24:25]
	v_add_f64 v[32:33], v[32:33], v[125:126]
	v_fma_f64 v[30:31], v[22:23], s[14:15], v[10:11]
	v_fma_f64 v[10:11], v[22:23], s[2:3], v[10:11]
	v_add_f64 v[22:23], v[20:21], -v[184:185]
	v_fma_f64 v[30:31], v[119:120], s[8:9], v[30:31]
	v_fma_f64 v[10:11], v[119:120], s[6:7], v[10:11]
	;; [unrolled: 1-line block ×4, first 2 shown]
	v_add_f64 v[16:17], v[104:105], v[18:19]
	v_add_f64 v[30:31], v[28:29], -v[168:169]
	v_add_f64 v[16:17], v[16:17], v[26:27]
	v_add_f64 v[16:17], v[16:17], v[34:35]
	;; [unrolled: 1-line block ×4, first 2 shown]
	v_add_f64 v[172:173], v[107:108], -v[119:120]
	v_fma_f64 v[16:17], v[16:17], -0.5, v[104:105]
	v_fma_f64 v[24:25], v[22:23], s[14:15], v[16:17]
	v_fma_f64 v[16:17], v[22:23], s[2:3], v[16:17]
	;; [unrolled: 1-line block ×6, first 2 shown]
	v_add_f64 v[16:17], v[18:19], v[178:179]
	v_add_f64 v[32:33], v[26:27], -v[18:19]
	v_add_f64 v[18:19], v[18:19], -v[178:179]
	;; [unrolled: 1-line block ×3, first 2 shown]
	v_fma_f64 v[16:17], v[16:17], -0.5, v[104:105]
	v_add_f64 v[104:105], v[34:35], -v[178:179]
	v_fma_f64 v[24:25], v[30:31], s[2:3], v[16:17]
	v_fma_f64 v[16:17], v[30:31], s[14:15], v[16:17]
	v_add_f64 v[32:33], v[32:33], v[104:105]
	v_add_f64 v[30:31], v[20:21], -v[28:29]
	v_fma_f64 v[24:25], v[22:23], s[6:7], v[24:25]
	v_fma_f64 v[16:17], v[22:23], s[8:9], v[16:17]
	;; [unrolled: 1-line block ×4, first 2 shown]
	v_add_f64 v[16:17], v[151:152], v[20:21]
	v_add_f64 v[32:33], v[184:185], -v[168:169]
	v_add_f64 v[16:17], v[16:17], v[28:29]
	v_add_f64 v[30:31], v[30:31], v[32:33]
	;; [unrolled: 1-line block ×7, first 2 shown]
	v_fma_f64 v[16:17], v[16:17], -0.5, v[151:152]
	v_add_f64 v[174:175], v[115:116], -v[129:130]
	v_add_f64 v[115:116], v[98:99], -v[102:103]
	v_fma_f64 v[24:25], v[18:19], s[2:3], v[16:17]
	v_fma_f64 v[16:17], v[18:19], s[14:15], v[16:17]
	;; [unrolled: 1-line block ×6, first 2 shown]
	v_add_f64 v[16:17], v[20:21], v[184:185]
	v_add_f64 v[20:21], v[28:29], -v[20:21]
	v_add_f64 v[28:29], v[168:169], -v[184:185]
	v_fma_f64 v[16:17], v[16:17], -0.5, v[151:152]
	v_add_f64 v[20:21], v[20:21], v[28:29]
	v_fma_f64 v[24:25], v[26:27], s[14:15], v[16:17]
	v_fma_f64 v[16:17], v[26:27], s[2:3], v[16:17]
	v_mul_f64 v[26:27], v[131:132], s[20:21]
	v_fma_f64 v[24:25], v[18:19], s[8:9], v[24:25]
	v_fma_f64 v[16:17], v[18:19], s[6:7], v[16:17]
	;; [unrolled: 1-line block ×4, first 2 shown]
	v_mul_f64 v[16:17], v[131:132], s[6:7]
	v_fma_f64 v[137:138], v[125:126], s[20:21], v[16:17]
	v_mul_f64 v[16:17], v[135:136], s[14:15]
	v_fma_f64 v[125:126], v[125:126], s[8:9], v[26:27]
	v_mul_f64 v[26:27], v[135:136], s[4:5]
	v_add_f64 v[28:29], v[113:114], v[137:138]
	v_fma_f64 v[139:140], v[104:105], s[4:5], v[16:17]
	v_mul_f64 v[16:17], v[18:19], s[14:15]
	v_mul_f64 v[18:19], v[18:19], s[22:23]
	v_fma_f64 v[104:105], v[104:105], s[2:3], v[26:27]
	v_add_f64 v[164:165], v[113:114], -v[137:138]
	v_add_f64 v[113:114], v[102:103], -v[98:99]
	v_add_f64 v[30:31], v[123:124], v[125:126]
	v_add_f64 v[166:167], v[123:124], -v[125:126]
	v_add_f64 v[24:25], v[117:118], v[139:140]
	v_fma_f64 v[141:142], v[22:23], s[22:23], v[16:17]
	v_fma_f64 v[135:136], v[22:23], s[2:3], v[18:19]
	v_mul_f64 v[16:17], v[133:134], s[6:7]
	v_add_f64 v[26:27], v[121:122], v[104:105]
	v_add_f64 v[162:163], v[121:122], -v[104:105]
	v_add_f64 v[104:105], v[88:89], -v[100:101]
	v_mul_f64 v[18:19], v[133:134], s[24:25]
	v_add_f64 v[160:161], v[117:118], -v[139:140]
	v_add_f64 v[20:21], v[111:112], v[141:142]
	v_add_f64 v[22:23], v[10:11], v[135:136]
	v_add_f64 v[154:155], v[10:11], -v[135:136]
	v_add_f64 v[10:11], v[94:95], v[98:99]
	v_fma_f64 v[143:144], v[127:128], s[24:25], v[16:17]
	v_add_f64 v[152:153], v[111:112], -v[141:142]
	v_add_f64 v[111:112], v[92:93], -v[94:95]
	v_fma_f64 v[127:128], v[127:128], s[8:9], v[18:19]
	v_fma_f64 v[10:11], v[10:11], -0.5, v[4:5]
	v_add_f64 v[16:17], v[109:110], v[143:144]
	v_add_f64 v[132:133], v[109:110], -v[143:144]
	v_add_f64 v[109:110], v[90:91], -v[96:97]
	v_add_f64 v[111:112], v[111:112], v[113:114]
	v_add_f64 v[18:19], v[8:9], v[127:128]
	v_add_f64 v[134:135], v[8:9], -v[127:128]
	v_add_f64 v[8:9], v[4:5], v[92:93]
	v_fma_f64 v[107:108], v[104:105], s[14:15], v[10:11]
	v_fma_f64 v[10:11], v[104:105], s[2:3], v[10:11]
	v_add_f64 v[113:114], v[94:95], -v[92:93]
	v_add_f64 v[8:9], v[8:9], v[94:95]
	v_fma_f64 v[107:108], v[109:110], s[6:7], v[107:108]
	v_fma_f64 v[10:11], v[109:110], s[8:9], v[10:11]
	v_add_f64 v[113:114], v[113:114], v[115:116]
	v_add_f64 v[94:95], v[94:95], -v[98:99]
	v_add_f64 v[115:116], v[82:83], -v[86:87]
	v_add_f64 v[8:9], v[8:9], v[98:99]
	v_fma_f64 v[107:108], v[111:112], s[4:5], v[107:108]
	v_fma_f64 v[10:11], v[111:112], s[4:5], v[10:11]
	v_add_f64 v[111:112], v[92:93], v[102:103]
	v_add_f64 v[92:93], v[92:93], -v[102:103]
	v_add_f64 v[8:9], v[8:9], v[102:103]
	v_fma_f64 v[4:5], v[111:112], -0.5, v[4:5]
	v_fma_f64 v[111:112], v[109:110], s[2:3], v[4:5]
	v_fma_f64 v[4:5], v[109:110], s[14:15], v[4:5]
	v_add_f64 v[109:110], v[90:91], v[96:97]
	v_fma_f64 v[111:112], v[104:105], s[6:7], v[111:112]
	v_fma_f64 v[4:5], v[104:105], s[8:9], v[4:5]
	v_fma_f64 v[109:110], v[109:110], -0.5, v[6:7]
	v_add_f64 v[104:105], v[6:7], v[88:89]
	v_fma_f64 v[111:112], v[113:114], s[4:5], v[111:112]
	v_fma_f64 v[4:5], v[113:114], s[4:5], v[4:5]
	;; [unrolled: 1-line block ×3, first 2 shown]
	v_add_f64 v[113:114], v[100:101], -v[96:97]
	v_fma_f64 v[109:110], v[92:93], s[14:15], v[109:110]
	v_add_f64 v[104:105], v[104:105], v[90:91]
	v_fma_f64 v[98:99], v[94:95], s[8:9], v[102:103]
	v_add_f64 v[102:103], v[88:89], -v[90:91]
	v_fma_f64 v[109:110], v[94:95], s[6:7], v[109:110]
	v_add_f64 v[104:105], v[104:105], v[96:97]
	v_add_f64 v[102:103], v[102:103], v[113:114]
	v_add_f64 v[113:114], v[86:87], -v[82:83]
	v_add_f64 v[104:105], v[104:105], v[100:101]
	v_fma_f64 v[98:99], v[102:103], s[4:5], v[98:99]
	v_fma_f64 v[102:103], v[102:103], s[4:5], v[109:110]
	v_add_f64 v[109:110], v[88:89], v[100:101]
	v_add_f64 v[88:89], v[90:91], -v[88:89]
	v_add_f64 v[90:91], v[96:97], -v[100:101]
	;; [unrolled: 1-line block ×3, first 2 shown]
	v_fma_f64 v[6:7], v[109:110], -0.5, v[6:7]
	v_add_f64 v[88:89], v[88:89], v[90:91]
	v_fma_f64 v[109:110], v[94:95], s[14:15], v[6:7]
	v_fma_f64 v[6:7], v[94:95], s[2:3], v[6:7]
	v_add_f64 v[94:95], v[38:39], -v[84:85]
	v_fma_f64 v[109:110], v[92:93], s[8:9], v[109:110]
	v_fma_f64 v[6:7], v[92:93], s[6:7], v[6:7]
	v_add_f64 v[92:93], v[78:79], v[82:83]
	v_fma_f64 v[90:91], v[88:89], s[4:5], v[109:110]
	v_add_f64 v[109:110], v[74:75], -v[78:79]
	v_fma_f64 v[92:93], v[92:93], -0.5, v[76:77]
	v_fma_f64 v[6:7], v[88:89], s[4:5], v[6:7]
	v_add_f64 v[88:89], v[76:77], v[74:75]
	v_add_f64 v[109:110], v[109:110], v[113:114]
	v_fma_f64 v[96:97], v[94:95], s[14:15], v[92:93]
	v_fma_f64 v[92:93], v[94:95], s[2:3], v[92:93]
	v_add_f64 v[88:89], v[88:89], v[78:79]
	v_add_f64 v[113:114], v[78:79], -v[74:75]
	v_add_f64 v[78:79], v[78:79], -v[82:83]
	v_fma_f64 v[96:97], v[100:101], s[6:7], v[96:97]
	v_fma_f64 v[92:93], v[100:101], s[8:9], v[92:93]
	v_add_f64 v[88:89], v[88:89], v[82:83]
	v_add_f64 v[113:114], v[113:114], v[115:116]
	v_fma_f64 v[96:97], v[109:110], s[4:5], v[96:97]
	v_fma_f64 v[92:93], v[109:110], s[4:5], v[92:93]
	v_add_f64 v[109:110], v[74:75], v[86:87]
	v_add_f64 v[74:75], v[74:75], -v[86:87]
	v_add_f64 v[88:89], v[88:89], v[86:87]
	v_fma_f64 v[76:77], v[109:110], -0.5, v[76:77]
	v_add_f64 v[208:209], v[8:9], v[88:89]
	v_add_f64 v[212:213], v[8:9], -v[88:89]
	v_add_f64 v[8:9], v[56:57], -v[66:67]
	v_fma_f64 v[109:110], v[100:101], s[2:3], v[76:77]
	v_fma_f64 v[76:77], v[100:101], s[14:15], v[76:77]
	v_add_f64 v[100:101], v[72:73], v[80:81]
	v_fma_f64 v[109:110], v[94:95], s[6:7], v[109:110]
	v_fma_f64 v[76:77], v[94:95], s[8:9], v[76:77]
	v_fma_f64 v[100:101], v[100:101], -0.5, v[36:37]
	v_add_f64 v[94:95], v[36:37], v[38:39]
	v_fma_f64 v[109:110], v[113:114], s[4:5], v[109:110]
	v_fma_f64 v[76:77], v[113:114], s[4:5], v[76:77]
	;; [unrolled: 1-line block ×3, first 2 shown]
	v_add_f64 v[113:114], v[84:85], -v[80:81]
	v_fma_f64 v[100:101], v[74:75], s[14:15], v[100:101]
	v_add_f64 v[94:95], v[94:95], v[72:73]
	v_fma_f64 v[82:83], v[78:79], s[8:9], v[86:87]
	v_add_f64 v[86:87], v[38:39], -v[72:73]
	v_fma_f64 v[100:101], v[78:79], s[6:7], v[100:101]
	v_add_f64 v[94:95], v[94:95], v[80:81]
	v_add_f64 v[86:87], v[86:87], v[113:114]
	v_add_f64 v[94:95], v[94:95], v[84:85]
	v_fma_f64 v[82:83], v[86:87], s[4:5], v[82:83]
	v_fma_f64 v[86:87], v[86:87], s[4:5], v[100:101]
	v_add_f64 v[100:101], v[38:39], v[84:85]
	v_add_f64 v[38:39], v[72:73], -v[38:39]
	v_add_f64 v[72:73], v[80:81], -v[84:85]
	v_add_f64 v[210:211], v[104:105], v[94:95]
	v_add_f64 v[214:215], v[104:105], -v[94:95]
	v_mul_f64 v[80:81], v[86:87], s[6:7]
	v_fma_f64 v[36:37], v[100:101], -0.5, v[36:37]
	v_add_f64 v[38:39], v[38:39], v[72:73]
	v_fma_f64 v[80:81], v[92:93], s[24:25], v[80:81]
	v_fma_f64 v[100:101], v[78:79], s[14:15], v[36:37]
	;; [unrolled: 1-line block ×3, first 2 shown]
	v_add_f64 v[184:185], v[10:11], v[80:81]
	v_fma_f64 v[100:101], v[74:75], s[8:9], v[100:101]
	v_fma_f64 v[36:37], v[74:75], s[6:7], v[36:37]
	;; [unrolled: 1-line block ×4, first 2 shown]
	v_mul_f64 v[38:39], v[82:83], s[6:7]
	v_mul_f64 v[82:83], v[82:83], s[20:21]
	;; [unrolled: 1-line block ×6, first 2 shown]
	v_fma_f64 v[38:39], v[96:97], s[20:21], v[38:39]
	v_fma_f64 v[82:83], v[96:97], s[8:9], v[82:83]
	;; [unrolled: 1-line block ×6, first 2 shown]
	v_mul_f64 v[36:37], v[86:87], s[24:25]
	v_add_f64 v[204:205], v[107:108], v[38:39]
	v_add_f64 v[200:201], v[107:108], -v[38:39]
	v_add_f64 v[206:207], v[98:99], v[82:83]
	v_add_f64 v[196:197], v[111:112], v[74:75]
	v_add_f64 v[188:189], v[111:112], -v[74:75]
	v_add_f64 v[194:195], v[6:7], v[76:77]
	v_add_f64 v[178:179], v[6:7], -v[76:77]
	v_add_f64 v[6:7], v[64:65], v[68:69]
	v_add_f64 v[198:199], v[90:91], v[72:73]
	v_fma_f64 v[84:85], v[92:93], s[8:9], v[36:37]
	v_add_f64 v[36:37], v[10:11], -v[80:81]
	v_add_f64 v[190:191], v[90:91], -v[72:73]
	;; [unrolled: 1-line block ×5, first 2 shown]
	v_fma_f64 v[6:7], v[6:7], -0.5, v[0:1]
	v_add_f64 v[192:193], v[4:5], v[78:79]
	v_add_f64 v[176:177], v[4:5], -v[78:79]
	v_add_f64 v[4:5], v[0:1], v[60:61]
	v_add_f64 v[78:79], v[68:69], -v[70:71]
	;; [unrolled: 2-line block ×3, first 2 shown]
	v_add_f64 v[74:75], v[74:75], v[76:77]
	v_fma_f64 v[10:11], v[8:9], s[14:15], v[6:7]
	v_fma_f64 v[6:7], v[8:9], s[2:3], v[6:7]
	v_add_f64 v[202:203], v[98:99], -v[82:83]
	v_add_f64 v[4:5], v[4:5], v[64:65]
	v_fma_f64 v[10:11], v[72:73], s[6:7], v[10:11]
	v_fma_f64 v[6:7], v[72:73], s[8:9], v[6:7]
	v_add_f64 v[4:5], v[4:5], v[68:69]
	v_fma_f64 v[76:77], v[74:75], s[4:5], v[10:11]
	v_add_f64 v[10:11], v[60:61], v[70:71]
	v_fma_f64 v[6:7], v[74:75], s[4:5], v[6:7]
	v_add_f64 v[74:75], v[64:65], -v[60:61]
	v_add_f64 v[4:5], v[4:5], v[70:71]
	v_add_f64 v[64:65], v[64:65], -v[68:69]
	v_add_f64 v[68:69], v[56:57], -v[58:59]
	v_fma_f64 v[0:1], v[10:11], -0.5, v[0:1]
	v_add_f64 v[74:75], v[74:75], v[78:79]
	v_fma_f64 v[10:11], v[72:73], s[2:3], v[0:1]
	v_fma_f64 v[0:1], v[72:73], s[14:15], v[0:1]
	;; [unrolled: 1-line block ×4, first 2 shown]
	v_add_f64 v[8:9], v[2:3], v[56:57]
	v_fma_f64 v[78:79], v[74:75], s[4:5], v[10:11]
	v_add_f64 v[10:11], v[60:61], -v[70:71]
	v_add_f64 v[8:9], v[8:9], v[58:59]
	v_add_f64 v[70:71], v[66:67], -v[62:63]
	v_fma_f64 v[0:1], v[74:75], s[4:5], v[0:1]
	v_add_f64 v[74:75], v[52:53], -v[54:55]
	v_add_f64 v[8:9], v[8:9], v[62:63]
	v_add_f64 v[68:69], v[68:69], v[70:71]
	;; [unrolled: 1-line block ×4, first 2 shown]
	v_fma_f64 v[8:9], v[8:9], -0.5, v[2:3]
	v_fma_f64 v[60:61], v[10:11], s[2:3], v[8:9]
	v_fma_f64 v[8:9], v[10:11], s[14:15], v[8:9]
	;; [unrolled: 1-line block ×6, first 2 shown]
	v_add_f64 v[8:9], v[56:57], v[66:67]
	v_add_f64 v[56:57], v[58:59], -v[56:57]
	v_add_f64 v[58:59], v[62:63], -v[66:67]
	;; [unrolled: 1-line block ×4, first 2 shown]
	v_fma_f64 v[2:3], v[8:9], -0.5, v[2:3]
	v_add_f64 v[56:57], v[56:57], v[58:59]
	v_fma_f64 v[8:9], v[64:65], s[14:15], v[2:3]
	v_fma_f64 v[2:3], v[64:65], s[2:3], v[2:3]
	v_add_f64 v[64:65], v[42:43], -v[48:49]
	v_fma_f64 v[8:9], v[10:11], s[8:9], v[8:9]
	v_fma_f64 v[2:3], v[10:11], s[6:7], v[2:3]
	v_add_f64 v[10:11], v[14:15], -v[50:51]
	v_add_f64 v[64:65], v[64:65], v[66:67]
	v_fma_f64 v[58:59], v[56:57], s[4:5], v[8:9]
	v_add_f64 v[8:9], v[44:45], v[42:43]
	v_fma_f64 v[2:3], v[56:57], s[4:5], v[2:3]
	v_add_f64 v[8:9], v[8:9], v[48:49]
	v_add_f64 v[8:9], v[8:9], v[52:53]
	v_add_f64 v[56:57], v[8:9], v[54:55]
	v_add_f64 v[8:9], v[48:49], v[52:53]
	v_add_f64 v[112:113], v[4:5], -v[56:57]
	v_fma_f64 v[8:9], v[8:9], -0.5, v[44:45]
	v_fma_f64 v[60:61], v[10:11], s[14:15], v[8:9]
	v_fma_f64 v[8:9], v[10:11], s[2:3], v[8:9]
	;; [unrolled: 1-line block ×6, first 2 shown]
	v_add_f64 v[8:9], v[42:43], v[54:55]
	v_add_f64 v[60:61], v[48:49], -v[42:43]
	v_add_f64 v[42:43], v[42:43], -v[54:55]
	v_add_f64 v[48:49], v[48:49], -v[52:53]
	v_fma_f64 v[8:9], v[8:9], -0.5, v[44:45]
	v_add_f64 v[60:61], v[60:61], v[74:75]
	v_fma_f64 v[44:45], v[62:63], s[2:3], v[8:9]
	v_fma_f64 v[8:9], v[62:63], s[14:15], v[8:9]
	v_fma_f64 v[44:45], v[10:11], s[6:7], v[44:45]
	v_fma_f64 v[8:9], v[10:11], s[8:9], v[8:9]
	v_fma_f64 v[44:45], v[60:61], s[4:5], v[44:45]
	v_fma_f64 v[10:11], v[60:61], s[4:5], v[8:9]
	v_add_f64 v[8:9], v[12:13], v[14:15]
	v_add_f64 v[60:61], v[50:51], -v[46:47]
	v_add_f64 v[8:9], v[8:9], v[40:41]
	v_add_f64 v[8:9], v[8:9], v[46:47]
	;; [unrolled: 1-line block ×4, first 2 shown]
	v_add_f64 v[114:115], v[72:73], -v[74:75]
	v_fma_f64 v[8:9], v[8:9], -0.5, v[12:13]
	v_fma_f64 v[54:55], v[42:43], s[2:3], v[8:9]
	v_fma_f64 v[8:9], v[42:43], s[14:15], v[8:9]
	;; [unrolled: 1-line block ×3, first 2 shown]
	v_add_f64 v[54:55], v[14:15], -v[40:41]
	v_fma_f64 v[8:9], v[48:49], s[6:7], v[8:9]
	v_add_f64 v[54:55], v[54:55], v[60:61]
	v_fma_f64 v[52:53], v[54:55], s[4:5], v[52:53]
	v_fma_f64 v[54:55], v[54:55], s[4:5], v[8:9]
	v_add_f64 v[8:9], v[14:15], v[50:51]
	v_add_f64 v[14:15], v[40:41], -v[14:15]
	v_add_f64 v[40:41], v[46:47], -v[50:51]
	v_fma_f64 v[8:9], v[8:9], -0.5, v[12:13]
	v_add_f64 v[14:15], v[14:15], v[40:41]
	v_add_f64 v[40:41], v[4:5], v[56:57]
	v_fma_f64 v[12:13], v[48:49], s[14:15], v[8:9]
	v_fma_f64 v[8:9], v[48:49], s[2:3], v[8:9]
	;; [unrolled: 1-line block ×4, first 2 shown]
	v_add_f64 v[42:43], v[72:73], v[74:75]
	v_fma_f64 v[12:13], v[14:15], s[4:5], v[12:13]
	v_fma_f64 v[14:15], v[14:15], s[4:5], v[8:9]
	v_mul_f64 v[8:9], v[52:53], s[6:7]
	v_mul_f64 v[52:53], v[52:53], s[20:21]
	v_fma_f64 v[46:47], v[66:67], s[20:21], v[8:9]
	v_mul_f64 v[8:9], v[12:13], s[14:15]
	v_mul_f64 v[12:13], v[12:13], s[4:5]
	v_fma_f64 v[52:53], v[66:67], s[8:9], v[52:53]
	v_add_f64 v[96:97], v[76:77], v[46:47]
	v_fma_f64 v[48:49], v[44:45], s[4:5], v[8:9]
	v_mul_f64 v[8:9], v[14:15], s[14:15]
	v_fma_f64 v[44:45], v[44:45], s[2:3], v[12:13]
	v_mul_f64 v[12:13], v[14:15], s[22:23]
	v_add_f64 v[98:99], v[70:71], v[52:53]
	v_add_f64 v[92:93], v[76:77], -v[46:47]
	v_add_f64 v[94:95], v[70:71], -v[52:53]
	v_add_f64 v[80:81], v[78:79], v[48:49]
	v_fma_f64 v[50:51], v[10:11], s[22:23], v[8:9]
	v_mul_f64 v[8:9], v[54:55], s[6:7]
	v_fma_f64 v[66:67], v[10:11], s[2:3], v[12:13]
	v_mul_f64 v[10:11], v[54:55], s[24:25]
	v_add_f64 v[82:83], v[58:59], v[44:45]
	v_add_f64 v[12:13], v[78:79], -v[48:49]
	v_add_f64 v[14:15], v[58:59], -v[44:45]
	v_add_f64 v[60:61], v[0:1], v[50:51]
	v_fma_f64 v[84:85], v[64:65], s[24:25], v[8:9]
	v_add_f64 v[62:63], v[2:3], v[66:67]
	v_fma_f64 v[54:55], v[64:65], s[8:9], v[10:11]
	v_add_f64 v[4:5], v[0:1], -v[50:51]
	v_add_f64 v[8:9], v[6:7], v[84:85]
	v_add_f64 v[0:1], v[6:7], -v[84:85]
	v_add_f64 v[10:11], v[68:69], v[54:55]
	v_add_f64 v[6:7], v[2:3], -v[66:67]
	v_add_f64 v[2:3], v[68:69], -v[54:55]
	ds_write_b128 v156, v[32:35]
	ds_write_b128 v156, v[28:31] offset:1200
	ds_write_b128 v156, v[24:27] offset:2400
	ds_write_b128 v156, v[20:23] offset:3600
	ds_write_b128 v156, v[16:19] offset:4800
	ds_write_b128 v156, v[172:175] offset:6000
	ds_write_b128 v156, v[164:167] offset:7200
	ds_write_b128 v156, v[160:163] offset:8400
	ds_write_b128 v156, v[152:155] offset:9600
	ds_write_b128 v156, v[132:135] offset:10800
	ds_write_b128 v157, v[208:211]
	ds_write_b128 v157, v[204:207] offset:1200
	ds_write_b128 v157, v[196:199] offset:2400
	ds_write_b128 v157, v[192:195] offset:3600
	ds_write_b128 v157, v[184:187] offset:4800
	ds_write_b128 v157, v[212:215] offset:6000
	ds_write_b128 v157, v[200:203] offset:7200
	ds_write_b128 v157, v[188:191] offset:8400
	ds_write_b128 v157, v[176:179] offset:9600
	ds_write_b128 v157, v[36:39] offset:10800
	;; [unrolled: 10-line block ×3, first 2 shown]
	s_waitcnt lgkmcnt(0)
	s_barrier
	ds_read_b128 v[24:27], v106
	ds_read_b128 v[44:47], v106 offset:12000
	ds_read_b128 v[52:55], v106 offset:24000
	;; [unrolled: 1-line block ×29, first 2 shown]
	buffer_load_dword v123, off, s[28:31], 0 offset:1540 ; 4-byte Folded Reload
	buffer_load_dword v124, off, s[28:31], 0 offset:1544 ; 4-byte Folded Reload
	;; [unrolled: 1-line block ×4, first 2 shown]
	s_waitcnt vmcnt(0) lgkmcnt(14)
	v_mul_f64 v[104:105], v[125:126], v[46:47]
	v_fma_f64 v[130:131], v[123:124], v[44:45], v[104:105]
	v_mul_f64 v[44:45], v[125:126], v[44:45]
	v_fma_f64 v[44:45], v[123:124], v[46:47], -v[44:45]
	buffer_load_dword v123, off, s[28:31], 0 offset:1556 ; 4-byte Folded Reload
	buffer_load_dword v124, off, s[28:31], 0 offset:1560 ; 4-byte Folded Reload
	;; [unrolled: 1-line block ×4, first 2 shown]
	s_waitcnt vmcnt(0)
	v_mul_f64 v[46:47], v[125:126], v[54:55]
	v_fma_f64 v[136:137], v[123:124], v[52:53], v[46:47]
	v_mul_f64 v[46:47], v[125:126], v[52:53]
	v_fma_f64 v[52:53], v[123:124], v[54:55], -v[46:47]
	buffer_load_dword v123, off, s[28:31], 0 offset:1520 ; 4-byte Folded Reload
	buffer_load_dword v124, off, s[28:31], 0 offset:1524 ; 4-byte Folded Reload
	;; [unrolled: 1-line block ×4, first 2 shown]
	s_waitcnt vmcnt(0)
	v_mul_f64 v[46:47], v[125:126], v[58:59]
	v_fma_f64 v[138:139], v[123:124], v[56:57], v[46:47]
	v_mul_f64 v[46:47], v[125:126], v[56:57]
	buffer_load_dword v54, off, s[28:31], 0 offset:1488 ; 4-byte Folded Reload
	buffer_load_dword v55, off, s[28:31], 0 offset:1492 ; 4-byte Folded Reload
	;; [unrolled: 1-line block ×4, first 2 shown]
	v_fma_f64 v[140:141], v[123:124], v[58:59], -v[46:47]
	s_waitcnt vmcnt(0)
	v_mul_f64 v[46:47], v[56:57], v[62:63]
	v_fma_f64 v[142:143], v[54:55], v[60:61], v[46:47]
	v_mul_f64 v[46:47], v[56:57], v[60:61]
	buffer_load_dword v56, off, s[28:31], 0 offset:1620 ; 4-byte Folded Reload
	buffer_load_dword v57, off, s[28:31], 0 offset:1624 ; 4-byte Folded Reload
	;; [unrolled: 1-line block ×4, first 2 shown]
	v_fma_f64 v[144:145], v[54:55], v[62:63], -v[46:47]
	s_waitcnt vmcnt(0)
	v_mul_f64 v[46:47], v[58:59], v[66:67]
	v_mul_f64 v[54:55], v[58:59], v[64:65]
	buffer_load_dword v58, off, s[28:31], 0 offset:1604 ; 4-byte Folded Reload
	buffer_load_dword v59, off, s[28:31], 0 offset:1608 ; 4-byte Folded Reload
	;; [unrolled: 1-line block ×4, first 2 shown]
	v_fma_f64 v[46:47], v[56:57], v[64:65], v[46:47]
	v_fma_f64 v[54:55], v[56:57], v[66:67], -v[54:55]
	s_waitcnt vmcnt(0)
	v_mul_f64 v[56:57], v[60:61], v[70:71]
	v_fma_f64 v[64:65], v[58:59], v[68:69], v[56:57]
	v_mul_f64 v[56:57], v[60:61], v[68:69]
	buffer_load_dword v60, off, s[28:31], 0 offset:1588 ; 4-byte Folded Reload
	buffer_load_dword v61, off, s[28:31], 0 offset:1592 ; 4-byte Folded Reload
	;; [unrolled: 1-line block ×4, first 2 shown]
	v_fma_f64 v[56:57], v[58:59], v[70:71], -v[56:57]
	s_waitcnt vmcnt(0)
	v_mul_f64 v[58:59], v[62:63], v[74:75]
	v_fma_f64 v[68:69], v[60:61], v[72:73], v[58:59]
	v_mul_f64 v[58:59], v[62:63], v[72:73]
	buffer_load_dword v70, off, s[28:31], 0 offset:1572 ; 4-byte Folded Reload
	buffer_load_dword v71, off, s[28:31], 0 offset:1576 ; 4-byte Folded Reload
	;; [unrolled: 1-line block ×4, first 2 shown]
	v_fma_f64 v[58:59], v[60:61], v[74:75], -v[58:59]
	s_waitcnt vmcnt(0)
	v_mul_f64 v[60:61], v[72:73], v[78:79]
	v_fma_f64 v[126:127], v[70:71], v[76:77], v[60:61]
	v_mul_f64 v[60:61], v[72:73], v[76:77]
	v_fma_f64 v[60:61], v[70:71], v[78:79], -v[60:61]
	buffer_load_dword v70, off, s[28:31], 0 offset:1688 ; 4-byte Folded Reload
	buffer_load_dword v71, off, s[28:31], 0 offset:1692 ; 4-byte Folded Reload
	;; [unrolled: 1-line block ×8, first 2 shown]
	s_waitcnt vmcnt(4)
	v_mul_f64 v[62:63], v[72:73], v[82:83]
	v_mul_f64 v[66:67], v[72:73], v[80:81]
	s_waitcnt vmcnt(0)
	v_mul_f64 v[72:73], v[76:77], v[84:85]
	v_fma_f64 v[62:63], v[70:71], v[80:81], v[62:63]
	v_fma_f64 v[70:71], v[70:71], v[82:83], -v[66:67]
	v_mul_f64 v[66:67], v[76:77], v[86:87]
	buffer_load_dword v76, off, s[28:31], 0 offset:1656 ; 4-byte Folded Reload
	buffer_load_dword v77, off, s[28:31], 0 offset:1660 ; 4-byte Folded Reload
	;; [unrolled: 1-line block ×4, first 2 shown]
	v_fma_f64 v[72:73], v[74:75], v[86:87], -v[72:73]
	v_fma_f64 v[66:67], v[74:75], v[84:85], v[66:67]
	s_waitcnt vmcnt(0)
	v_mul_f64 v[74:75], v[78:79], v[90:91]
	v_fma_f64 v[80:81], v[76:77], v[88:89], v[74:75]
	v_mul_f64 v[74:75], v[78:79], v[88:89]
	buffer_load_dword v86, off, s[28:31], 0 offset:1636 ; 4-byte Folded Reload
	buffer_load_dword v87, off, s[28:31], 0 offset:1640 ; 4-byte Folded Reload
	;; [unrolled: 1-line block ×4, first 2 shown]
	v_fma_f64 v[74:75], v[76:77], v[90:91], -v[74:75]
	s_waitcnt vmcnt(0)
	v_mul_f64 v[76:77], v[88:89], v[94:95]
	v_fma_f64 v[84:85], v[86:87], v[92:93], v[76:77]
	v_mul_f64 v[76:77], v[88:89], v[92:93]
	v_fma_f64 v[76:77], v[86:87], v[94:95], -v[76:77]
	buffer_load_dword v86, off, s[28:31], 0 offset:1752 ; 4-byte Folded Reload
	buffer_load_dword v87, off, s[28:31], 0 offset:1756 ; 4-byte Folded Reload
	;; [unrolled: 1-line block ×8, first 2 shown]
	s_waitcnt vmcnt(4) lgkmcnt(13)
	v_mul_f64 v[78:79], v[88:89], v[98:99]
	v_mul_f64 v[82:83], v[88:89], v[96:97]
	s_waitcnt vmcnt(0) lgkmcnt(12)
	v_mul_f64 v[88:89], v[92:93], v[100:101]
	v_fma_f64 v[78:79], v[86:87], v[96:97], v[78:79]
	v_fma_f64 v[86:87], v[86:87], v[98:99], -v[82:83]
	v_mul_f64 v[82:83], v[92:93], v[102:103]
	buffer_load_dword v92, off, s[28:31], 0 offset:1720 ; 4-byte Folded Reload
	buffer_load_dword v93, off, s[28:31], 0 offset:1724 ; 4-byte Folded Reload
	;; [unrolled: 1-line block ×4, first 2 shown]
	v_fma_f64 v[88:89], v[90:91], v[102:103], -v[88:89]
	buffer_load_dword v102, off, s[28:31], 0 offset:1704 ; 4-byte Folded Reload
	buffer_load_dword v103, off, s[28:31], 0 offset:1708 ; 4-byte Folded Reload
	;; [unrolled: 1-line block ×4, first 2 shown]
	s_waitcnt lgkmcnt(8)
	v_mul_f64 v[98:99], v[238:239], v[115:116]
	v_fma_f64 v[82:83], v[90:91], v[100:101], v[82:83]
	s_waitcnt vmcnt(4)
	v_mul_f64 v[90:91], v[94:95], v[109:110]
	v_fma_f64 v[96:97], v[92:93], v[107:108], v[90:91]
	v_mul_f64 v[90:91], v[94:95], v[107:108]
	v_mul_f64 v[94:95], v[238:239], v[117:118]
	v_fma_f64 v[90:91], v[92:93], v[109:110], -v[90:91]
	buffer_load_dword v107, off, s[28:31], 0 offset:1768 ; 4-byte Folded Reload
	buffer_load_dword v108, off, s[28:31], 0 offset:1772 ; 4-byte Folded Reload
	;; [unrolled: 1-line block ×4, first 2 shown]
	s_waitcnt vmcnt(4)
	v_mul_f64 v[92:93], v[104:105], v[113:114]
	v_fma_f64 v[94:95], v[236:237], v[115:116], v[94:95]
	v_fma_f64 v[100:101], v[102:103], v[111:112], v[92:93]
	v_mul_f64 v[92:93], v[104:105], v[111:112]
	s_waitcnt lgkmcnt(7)
	v_mul_f64 v[104:105], v[242:243], v[119:120]
	v_fma_f64 v[92:93], v[102:103], v[113:114], -v[92:93]
	v_fma_f64 v[132:133], v[240:241], v[121:122], -v[104:105]
	s_waitcnt lgkmcnt(6)
	v_mul_f64 v[104:105], v[254:255], v[42:43]
	v_fma_f64 v[102:103], v[236:237], v[117:118], -v[98:99]
	v_mul_f64 v[98:99], v[242:243], v[121:122]
	v_fma_f64 v[122:123], v[252:253], v[40:41], v[104:105]
	v_mul_f64 v[40:41], v[254:255], v[40:41]
	v_fma_f64 v[98:99], v[240:241], v[119:120], v[98:99]
	v_fma_f64 v[134:135], v[252:253], v[42:43], -v[40:41]
	v_add_f64 v[42:43], v[140:141], -v[144:145]
	s_waitcnt vmcnt(0) lgkmcnt(5)
	v_mul_f64 v[40:41], v[109:110], v[38:39]
	v_fma_f64 v[124:125], v[107:108], v[36:37], v[40:41]
	v_mul_f64 v[36:37], v[109:110], v[36:37]
	v_add_f64 v[40:41], v[144:145], -v[140:141]
	v_fma_f64 v[120:121], v[107:108], v[38:39], -v[36:37]
	s_waitcnt lgkmcnt(3)
	v_mul_f64 v[36:37], v[182:183], v[30:31]
	v_add_f64 v[38:39], v[136:137], -v[138:139]
	v_fma_f64 v[112:113], v[180:181], v[28:29], v[36:37]
	v_mul_f64 v[28:29], v[182:183], v[28:29]
	v_add_f64 v[36:37], v[130:131], -v[142:143]
	v_fma_f64 v[104:105], v[180:181], v[30:31], -v[28:29]
	s_waitcnt lgkmcnt(2)
	v_mul_f64 v[28:29], v[218:219], v[22:23]
	v_add_f64 v[30:31], v[138:139], -v[142:143]
	;; [unrolled: 7-line block ×4, first 2 shown]
	v_add_f64 v[28:29], v[20:21], v[28:29]
	v_fma_f64 v[118:119], v[228:229], v[8:9], v[16:17]
	v_mul_f64 v[8:9], v[230:231], v[8:9]
	v_fma_f64 v[110:111], v[228:229], v[10:11], -v[8:9]
	v_add_f64 v[10:11], v[136:137], v[138:139]
	v_add_f64 v[8:9], v[24:25], v[130:131]
	v_fma_f64 v[10:11], v[10:11], -0.5, v[24:25]
	v_add_f64 v[8:9], v[8:9], v[136:137]
	v_fma_f64 v[16:17], v[18:19], s[14:15], v[10:11]
	v_fma_f64 v[10:11], v[18:19], s[2:3], v[10:11]
	v_add_f64 v[8:9], v[8:9], v[138:139]
	v_fma_f64 v[16:17], v[22:23], s[6:7], v[16:17]
	v_fma_f64 v[10:11], v[22:23], s[8:9], v[10:11]
	;; [unrolled: 3-line block ×3, first 2 shown]
	v_add_f64 v[10:11], v[130:131], v[142:143]
	v_add_f64 v[28:29], v[136:137], -v[130:131]
	v_add_f64 v[130:131], v[56:57], -v[58:59]
	;; [unrolled: 1-line block ×3, first 2 shown]
	v_fma_f64 v[10:11], v[10:11], -0.5, v[24:25]
	v_add_f64 v[30:31], v[28:29], v[30:31]
	v_fma_f64 v[24:25], v[22:23], s[2:3], v[10:11]
	v_fma_f64 v[10:11], v[22:23], s[14:15], v[10:11]
	;; [unrolled: 1-line block ×4, first 2 shown]
	v_add_f64 v[18:19], v[52:53], v[140:141]
	v_fma_f64 v[28:29], v[30:31], s[4:5], v[24:25]
	v_fma_f64 v[24:25], v[30:31], s[4:5], v[10:11]
	v_fma_f64 v[18:19], v[18:19], -0.5, v[26:27]
	v_add_f64 v[30:31], v[44:45], -v[52:53]
	v_add_f64 v[10:11], v[26:27], v[44:45]
	v_fma_f64 v[22:23], v[36:37], s[2:3], v[18:19]
	v_fma_f64 v[18:19], v[36:37], s[14:15], v[18:19]
	v_add_f64 v[30:31], v[30:31], v[40:41]
	v_add_f64 v[40:41], v[52:53], -v[44:45]
	v_add_f64 v[10:11], v[10:11], v[52:53]
	v_add_f64 v[52:53], v[126:127], -v[68:69]
	v_fma_f64 v[22:23], v[38:39], s[8:9], v[22:23]
	v_fma_f64 v[18:19], v[38:39], s[6:7], v[18:19]
	v_add_f64 v[40:41], v[40:41], v[42:43]
	v_add_f64 v[42:43], v[54:55], -v[60:61]
	v_add_f64 v[10:11], v[10:11], v[140:141]
	v_fma_f64 v[22:23], v[30:31], s[4:5], v[22:23]
	v_fma_f64 v[18:19], v[30:31], s[4:5], v[18:19]
	v_add_f64 v[30:31], v[44:45], v[144:145]
	v_add_f64 v[44:45], v[46:47], -v[64:65]
	v_add_f64 v[10:11], v[10:11], v[144:145]
	v_fma_f64 v[26:27], v[30:31], -0.5, v[26:27]
	v_add_f64 v[52:53], v[44:45], v[52:53]
	v_fma_f64 v[30:31], v[38:39], s[14:15], v[26:27]
	v_fma_f64 v[26:27], v[38:39], s[2:3], v[26:27]
	v_add_f64 v[38:39], v[64:65], v[68:69]
	v_fma_f64 v[30:31], v[36:37], s[8:9], v[30:31]
	v_fma_f64 v[26:27], v[36:37], s[6:7], v[26:27]
	v_fma_f64 v[38:39], v[38:39], -0.5, v[48:49]
	v_add_f64 v[36:37], v[48:49], v[46:47]
	v_fma_f64 v[30:31], v[40:41], s[4:5], v[30:31]
	v_fma_f64 v[26:27], v[40:41], s[4:5], v[26:27]
	v_fma_f64 v[40:41], v[42:43], s[14:15], v[38:39]
	v_fma_f64 v[38:39], v[42:43], s[2:3], v[38:39]
	v_add_f64 v[36:37], v[36:37], v[64:65]
	v_fma_f64 v[40:41], v[130:131], s[6:7], v[40:41]
	v_fma_f64 v[38:39], v[130:131], s[8:9], v[38:39]
	v_add_f64 v[36:37], v[36:37], v[68:69]
	v_fma_f64 v[44:45], v[52:53], s[4:5], v[40:41]
	v_fma_f64 v[40:41], v[52:53], s[4:5], v[38:39]
	v_add_f64 v[38:39], v[46:47], v[126:127]
	v_add_f64 v[36:37], v[36:37], v[126:127]
	v_add_f64 v[126:127], v[46:47], -v[126:127]
	v_add_f64 v[52:53], v[64:65], -v[46:47]
	;; [unrolled: 1-line block ×4, first 2 shown]
	v_fma_f64 v[38:39], v[38:39], -0.5, v[48:49]
	v_add_f64 v[136:137], v[52:53], v[136:137]
	v_fma_f64 v[48:49], v[130:131], s[2:3], v[38:39]
	v_fma_f64 v[38:39], v[130:131], s[14:15], v[38:39]
	v_add_f64 v[130:131], v[60:61], -v[58:59]
	v_fma_f64 v[48:49], v[42:43], s[6:7], v[48:49]
	v_fma_f64 v[38:39], v[42:43], s[8:9], v[38:39]
	v_add_f64 v[42:43], v[56:57], v[58:59]
	v_add_f64 v[68:69], v[68:69], v[130:131]
	v_add_f64 v[130:131], v[84:85], -v[80:81]
	v_fma_f64 v[52:53], v[136:137], s[4:5], v[48:49]
	v_fma_f64 v[48:49], v[136:137], s[4:5], v[38:39]
	v_fma_f64 v[42:43], v[42:43], -0.5, v[50:51]
	v_add_f64 v[38:39], v[50:51], v[54:55]
	v_add_f64 v[136:137], v[80:81], -v[84:85]
	v_fma_f64 v[46:47], v[126:127], s[2:3], v[42:43]
	v_fma_f64 v[42:43], v[126:127], s[14:15], v[42:43]
	v_add_f64 v[38:39], v[38:39], v[56:57]
	v_fma_f64 v[46:47], v[64:65], s[8:9], v[46:47]
	v_fma_f64 v[42:43], v[64:65], s[6:7], v[42:43]
	v_add_f64 v[38:39], v[38:39], v[58:59]
	;; [unrolled: 3-line block ×3, first 2 shown]
	v_add_f64 v[54:55], v[56:57], -v[54:55]
	v_add_f64 v[56:57], v[58:59], -v[60:61]
	v_add_f64 v[58:59], v[66:67], v[80:81]
	v_add_f64 v[38:39], v[38:39], v[60:61]
	v_fma_f64 v[50:51], v[68:69], -0.5, v[50:51]
	v_add_f64 v[56:57], v[54:55], v[56:57]
	v_fma_f64 v[58:59], v[58:59], -0.5, v[32:33]
	v_fma_f64 v[68:69], v[64:65], s[14:15], v[50:51]
	v_fma_f64 v[50:51], v[64:65], s[2:3], v[50:51]
	v_add_f64 v[64:65], v[62:63], -v[66:67]
	v_fma_f64 v[68:69], v[126:127], s[8:9], v[68:69]
	v_fma_f64 v[50:51], v[126:127], s[6:7], v[50:51]
	v_add_f64 v[126:127], v[72:73], -v[74:75]
	v_add_f64 v[130:131], v[64:65], v[130:131]
	v_fma_f64 v[54:55], v[56:57], s[4:5], v[68:69]
	v_add_f64 v[68:69], v[70:71], -v[76:77]
	v_fma_f64 v[50:51], v[56:57], s[4:5], v[50:51]
	v_add_f64 v[56:57], v[32:33], v[62:63]
	v_fma_f64 v[60:61], v[68:69], s[14:15], v[58:59]
	v_fma_f64 v[58:59], v[68:69], s[2:3], v[58:59]
	v_add_f64 v[56:57], v[56:57], v[66:67]
	v_fma_f64 v[60:61], v[126:127], s[6:7], v[60:61]
	v_fma_f64 v[58:59], v[126:127], s[8:9], v[58:59]
	v_add_f64 v[56:57], v[56:57], v[80:81]
	v_add_f64 v[80:81], v[66:67], -v[80:81]
	v_fma_f64 v[64:65], v[130:131], s[4:5], v[60:61]
	v_fma_f64 v[60:61], v[130:131], s[4:5], v[58:59]
	v_add_f64 v[58:59], v[62:63], v[84:85]
	v_add_f64 v[130:131], v[66:67], -v[62:63]
	v_add_f64 v[56:57], v[56:57], v[84:85]
	v_add_f64 v[84:85], v[62:63], -v[84:85]
	v_add_f64 v[66:67], v[70:71], -v[72:73]
	v_fma_f64 v[58:59], v[58:59], -0.5, v[32:33]
	v_add_f64 v[130:131], v[130:131], v[136:137]
	v_add_f64 v[136:137], v[96:97], -v[100:101]
	v_fma_f64 v[32:33], v[126:127], s[2:3], v[58:59]
	v_fma_f64 v[58:59], v[126:127], s[14:15], v[58:59]
	v_add_f64 v[126:127], v[72:73], v[74:75]
	v_fma_f64 v[32:33], v[68:69], s[6:7], v[32:33]
	v_fma_f64 v[58:59], v[68:69], s[8:9], v[58:59]
	v_fma_f64 v[126:127], v[126:127], -0.5, v[34:35]
	v_fma_f64 v[32:33], v[130:131], s[4:5], v[32:33]
	v_fma_f64 v[68:69], v[130:131], s[4:5], v[58:59]
	;; [unrolled: 1-line block ×3, first 2 shown]
	v_add_f64 v[130:131], v[76:77], -v[74:75]
	v_add_f64 v[58:59], v[34:35], v[70:71]
	v_fma_f64 v[62:63], v[80:81], s[8:9], v[62:63]
	v_add_f64 v[130:131], v[66:67], v[130:131]
	v_add_f64 v[58:59], v[58:59], v[72:73]
	v_fma_f64 v[66:67], v[130:131], s[4:5], v[62:63]
	v_fma_f64 v[62:63], v[84:85], s[14:15], v[126:127]
	v_add_f64 v[126:127], v[70:71], v[76:77]
	v_add_f64 v[70:71], v[72:73], -v[70:71]
	v_add_f64 v[72:73], v[74:75], -v[76:77]
	v_add_f64 v[58:59], v[58:59], v[74:75]
	v_add_f64 v[74:75], v[82:83], v[96:97]
	v_fma_f64 v[62:63], v[80:81], s[6:7], v[62:63]
	v_fma_f64 v[126:127], v[126:127], -0.5, v[34:35]
	v_add_f64 v[70:71], v[70:71], v[72:73]
	v_add_f64 v[58:59], v[58:59], v[76:77]
	v_fma_f64 v[74:75], v[74:75], -0.5, v[12:13]
	v_fma_f64 v[62:63], v[130:131], s[4:5], v[62:63]
	v_fma_f64 v[34:35], v[80:81], s[14:15], v[126:127]
	;; [unrolled: 1-line block ×3, first 2 shown]
	v_add_f64 v[126:127], v[88:89], -v[90:91]
	v_add_f64 v[80:81], v[78:79], -v[82:83]
	;; [unrolled: 1-line block ×3, first 2 shown]
	v_fma_f64 v[34:35], v[84:85], s[8:9], v[34:35]
	v_fma_f64 v[72:73], v[84:85], s[6:7], v[72:73]
	v_add_f64 v[84:85], v[86:87], -v[92:93]
	v_add_f64 v[130:131], v[80:81], v[130:131]
	v_fma_f64 v[34:35], v[70:71], s[4:5], v[34:35]
	v_fma_f64 v[70:71], v[70:71], s[4:5], v[72:73]
	;; [unrolled: 1-line block ×4, first 2 shown]
	v_add_f64 v[72:73], v[12:13], v[78:79]
	v_fma_f64 v[76:77], v[126:127], s[6:7], v[76:77]
	v_fma_f64 v[74:75], v[126:127], s[8:9], v[74:75]
	v_add_f64 v[72:73], v[72:73], v[82:83]
	v_fma_f64 v[80:81], v[130:131], s[4:5], v[76:77]
	v_fma_f64 v[76:77], v[130:131], s[4:5], v[74:75]
	v_add_f64 v[74:75], v[78:79], v[100:101]
	v_add_f64 v[72:73], v[72:73], v[96:97]
	v_add_f64 v[130:131], v[82:83], -v[78:79]
	v_add_f64 v[96:97], v[82:83], -v[96:97]
	v_add_f64 v[82:83], v[86:87], -v[88:89]
	v_fma_f64 v[74:75], v[74:75], -0.5, v[12:13]
	v_add_f64 v[72:73], v[72:73], v[100:101]
	v_add_f64 v[130:131], v[130:131], v[136:137]
	v_add_f64 v[100:101], v[78:79], -v[100:101]
	v_add_f64 v[136:137], v[122:123], -v[124:125]
	v_fma_f64 v[12:13], v[126:127], s[2:3], v[74:75]
	v_fma_f64 v[74:75], v[126:127], s[14:15], v[74:75]
	v_add_f64 v[126:127], v[88:89], v[90:91]
	v_fma_f64 v[12:13], v[84:85], s[6:7], v[12:13]
	v_fma_f64 v[74:75], v[84:85], s[8:9], v[74:75]
	v_fma_f64 v[126:127], v[126:127], -0.5, v[14:15]
	v_fma_f64 v[12:13], v[130:131], s[4:5], v[12:13]
	v_fma_f64 v[84:85], v[130:131], s[4:5], v[74:75]
	;; [unrolled: 1-line block ×3, first 2 shown]
	v_add_f64 v[130:131], v[92:93], -v[90:91]
	v_add_f64 v[74:75], v[14:15], v[86:87]
	v_fma_f64 v[78:79], v[96:97], s[8:9], v[78:79]
	v_add_f64 v[130:131], v[82:83], v[130:131]
	v_add_f64 v[74:75], v[74:75], v[88:89]
	v_fma_f64 v[82:83], v[130:131], s[4:5], v[78:79]
	v_fma_f64 v[78:79], v[100:101], s[14:15], v[126:127]
	v_add_f64 v[126:127], v[86:87], v[92:93]
	v_add_f64 v[74:75], v[74:75], v[90:91]
	v_add_f64 v[86:87], v[88:89], -v[86:87]
	v_add_f64 v[88:89], v[90:91], -v[92:93]
	v_add_f64 v[90:91], v[98:99], v[122:123]
	v_fma_f64 v[78:79], v[96:97], s[6:7], v[78:79]
	v_fma_f64 v[126:127], v[126:127], -0.5, v[14:15]
	v_add_f64 v[74:75], v[74:75], v[92:93]
	v_add_f64 v[86:87], v[86:87], v[88:89]
	v_fma_f64 v[90:91], v[90:91], -0.5, v[4:5]
	v_fma_f64 v[78:79], v[130:131], s[4:5], v[78:79]
	v_fma_f64 v[14:15], v[96:97], s[14:15], v[126:127]
	;; [unrolled: 1-line block ×3, first 2 shown]
	v_add_f64 v[126:127], v[102:103], -v[120:121]
	v_add_f64 v[130:131], v[132:133], -v[134:135]
	;; [unrolled: 1-line block ×3, first 2 shown]
	v_fma_f64 v[14:15], v[100:101], s[8:9], v[14:15]
	v_fma_f64 v[88:89], v[100:101], s[6:7], v[88:89]
	;; [unrolled: 1-line block ×3, first 2 shown]
	v_add_f64 v[100:101], v[124:125], -v[122:123]
	v_fma_f64 v[90:91], v[126:127], s[2:3], v[90:91]
	v_fma_f64 v[14:15], v[86:87], s[4:5], v[14:15]
	;; [unrolled: 1-line block ×4, first 2 shown]
	v_add_f64 v[100:101], v[96:97], v[100:101]
	v_fma_f64 v[90:91], v[130:131], s[8:9], v[90:91]
	v_add_f64 v[88:89], v[4:5], v[94:95]
	v_fma_f64 v[96:97], v[100:101], s[4:5], v[92:93]
	v_fma_f64 v[92:93], v[100:101], s[4:5], v[90:91]
	v_add_f64 v[90:91], v[94:95], v[124:125]
	v_add_f64 v[88:89], v[88:89], v[98:99]
	v_add_f64 v[100:101], v[98:99], -v[94:95]
	v_fma_f64 v[4:5], v[90:91], -0.5, v[4:5]
	v_add_f64 v[88:89], v[88:89], v[122:123]
	v_add_f64 v[136:137], v[100:101], v[136:137]
	v_add_f64 v[122:123], v[98:99], -v[122:123]
	v_add_f64 v[98:99], v[102:103], -v[132:133]
	v_fma_f64 v[90:91], v[130:131], s[2:3], v[4:5]
	v_fma_f64 v[4:5], v[130:131], s[14:15], v[4:5]
	v_add_f64 v[88:89], v[88:89], v[124:125]
	v_add_f64 v[124:125], v[94:95], -v[124:125]
	v_add_f64 v[130:131], v[120:121], -v[134:135]
	v_fma_f64 v[90:91], v[126:127], s[6:7], v[90:91]
	v_fma_f64 v[4:5], v[126:127], s[8:9], v[4:5]
	v_add_f64 v[126:127], v[132:133], v[134:135]
	v_add_f64 v[130:131], v[98:99], v[130:131]
	v_fma_f64 v[100:101], v[136:137], s[4:5], v[90:91]
	v_add_f64 v[90:91], v[6:7], v[102:103]
	v_fma_f64 v[126:127], v[126:127], -0.5, v[6:7]
	v_fma_f64 v[4:5], v[136:137], s[4:5], v[4:5]
	v_add_f64 v[136:137], v[116:117], -v[118:119]
	v_add_f64 v[90:91], v[90:91], v[132:133]
	v_fma_f64 v[94:95], v[124:125], s[2:3], v[126:127]
	v_add_f64 v[90:91], v[90:91], v[134:135]
	v_fma_f64 v[94:95], v[122:123], s[8:9], v[94:95]
	;; [unrolled: 2-line block ×3, first 2 shown]
	v_fma_f64 v[94:95], v[124:125], s[14:15], v[126:127]
	v_add_f64 v[126:127], v[102:103], v[120:121]
	v_add_f64 v[102:103], v[132:133], -v[102:103]
	v_add_f64 v[120:121], v[134:135], -v[120:121]
	;; [unrolled: 1-line block ×4, first 2 shown]
	v_fma_f64 v[94:95], v[122:123], s[6:7], v[94:95]
	v_fma_f64 v[6:7], v[126:127], -0.5, v[6:7]
	v_add_f64 v[120:121], v[102:103], v[120:121]
	v_fma_f64 v[94:95], v[130:131], s[4:5], v[94:95]
	v_fma_f64 v[126:127], v[122:123], s[14:15], v[6:7]
	;; [unrolled: 1-line block ×3, first 2 shown]
	v_add_f64 v[122:123], v[114:115], v[116:117]
	v_add_f64 v[130:131], v[112:113], -v[114:115]
	v_fma_f64 v[126:127], v[124:125], s[8:9], v[126:127]
	v_fma_f64 v[6:7], v[124:125], s[6:7], v[6:7]
	v_fma_f64 v[122:123], v[122:123], -0.5, v[0:1]
	v_add_f64 v[130:131], v[130:131], v[134:135]
	v_add_f64 v[134:135], v[114:115], -v[112:113]
	v_fma_f64 v[102:103], v[120:121], s[4:5], v[126:127]
	v_add_f64 v[126:127], v[104:105], -v[110:111]
	v_fma_f64 v[6:7], v[120:121], s[4:5], v[6:7]
	v_add_f64 v[120:121], v[0:1], v[112:113]
	v_add_f64 v[134:135], v[134:135], v[136:137]
	v_fma_f64 v[124:125], v[126:127], s[14:15], v[122:123]
	v_fma_f64 v[122:123], v[126:127], s[2:3], v[122:123]
	v_add_f64 v[120:121], v[120:121], v[114:115]
	v_add_f64 v[114:115], v[114:115], -v[116:117]
	v_fma_f64 v[124:125], v[132:133], s[6:7], v[124:125]
	v_fma_f64 v[122:123], v[132:133], s[8:9], v[122:123]
	v_add_f64 v[120:121], v[120:121], v[116:117]
	v_fma_f64 v[124:125], v[130:131], s[4:5], v[124:125]
	v_fma_f64 v[130:131], v[130:131], s[4:5], v[122:123]
	v_add_f64 v[122:123], v[112:113], v[118:119]
	v_add_f64 v[112:113], v[112:113], -v[118:119]
	v_add_f64 v[120:121], v[120:121], v[118:119]
	v_fma_f64 v[122:123], v[122:123], -0.5, v[0:1]
	v_fma_f64 v[0:1], v[132:133], s[2:3], v[122:123]
	v_fma_f64 v[122:123], v[132:133], s[14:15], v[122:123]
	;; [unrolled: 1-line block ×4, first 2 shown]
	v_add_f64 v[126:127], v[128:129], v[108:109]
	v_fma_f64 v[0:1], v[134:135], s[4:5], v[0:1]
	v_fma_f64 v[134:135], v[134:135], s[4:5], v[122:123]
	v_fma_f64 v[132:133], v[126:127], -0.5, v[2:3]
	v_add_f64 v[126:127], v[110:111], -v[108:109]
	v_add_f64 v[122:123], v[2:3], v[104:105]
	v_fma_f64 v[118:119], v[112:113], s[2:3], v[132:133]
	v_add_f64 v[122:123], v[122:123], v[128:129]
	v_fma_f64 v[116:117], v[114:115], s[8:9], v[118:119]
	v_add_f64 v[118:119], v[104:105], -v[128:129]
	v_add_f64 v[122:123], v[122:123], v[108:109]
	v_add_f64 v[107:108], v[108:109], -v[110:111]
	v_add_f64 v[118:119], v[118:119], v[126:127]
	v_add_f64 v[122:123], v[122:123], v[110:111]
	v_fma_f64 v[126:127], v[118:119], s[4:5], v[116:117]
	v_fma_f64 v[116:117], v[112:113], s[14:15], v[132:133]
	v_fma_f64 v[116:117], v[114:115], s[6:7], v[116:117]
	v_fma_f64 v[132:133], v[118:119], s[4:5], v[116:117]
	v_add_f64 v[116:117], v[104:105], v[110:111]
	v_add_f64 v[104:105], v[128:129], -v[104:105]
	v_fma_f64 v[116:117], v[116:117], -0.5, v[2:3]
	v_add_f64 v[104:105], v[104:105], v[107:108]
	v_fma_f64 v[2:3], v[114:115], s[14:15], v[116:117]
	v_fma_f64 v[107:108], v[114:115], s[2:3], v[116:117]
	s_mov_b32 s2, 0x9cbd821e
	s_mov_b32 s3, 0x3f3179ec
	v_fma_f64 v[2:3], v[112:113], s[8:9], v[2:3]
	v_fma_f64 v[107:108], v[112:113], s[6:7], v[107:108]
	s_mul_hi_u32 s6, s0, 0xffff6b90
	s_sub_i32 s6, s6, s0
	v_fma_f64 v[2:3], v[104:105], s[4:5], v[2:3]
	v_fma_f64 v[136:137], v[104:105], s[4:5], v[107:108]
	ds_write_b128 v106, v[8:11]
	ds_write_b128 v106, v[20:23] offset:12000
	ds_write_b128 v106, v[28:31] offset:24000
	;; [unrolled: 1-line block ×29, first 2 shown]
	s_waitcnt lgkmcnt(0)
	s_barrier
	ds_read_b128 v[0:3], v106
	buffer_load_dword v6, off, s[28:31], 0 offset:24 ; 4-byte Folded Reload
	buffer_load_dword v7, off, s[28:31], 0 offset:28 ; 4-byte Folded Reload
	;; [unrolled: 1-line block ×4, first 2 shown]
	s_waitcnt vmcnt(0) lgkmcnt(0)
	v_mul_f64 v[4:5], v[8:9], v[2:3]
	v_fma_f64 v[4:5], v[6:7], v[0:1], v[4:5]
	v_mul_f64 v[0:1], v[8:9], v[0:1]
	v_mov_b32_e32 v8, s13
	v_mul_f64 v[4:5], v[4:5], s[2:3]
	v_fma_f64 v[0:1], v[6:7], v[2:3], -v[0:1]
	buffer_load_dword v2, off, s[28:31], 0 offset:488 ; 4-byte Folded Reload
	v_mul_f64 v[6:7], v[0:1], s[2:3]
	s_waitcnt vmcnt(0)
	v_mad_u64_u32 v[0:1], s[4:5], s0, v2, 0
	v_mad_u64_u32 v[1:2], s[4:5], s1, v2, v[1:2]
	buffer_load_dword v2, off, s[28:31], 0  ; 4-byte Folded Reload
	buffer_load_dword v3, off, s[28:31], 0 offset:4 ; 4-byte Folded Reload
	s_mul_i32 s4, s1, 0x4e20
	v_lshlrev_b64 v[0:1], 4, v[0:1]
	s_mul_hi_u32 s5, s0, 0x4e20
	s_add_i32 s4, s5, s4
	s_mul_i32 s5, s0, 0x4e20
	s_mul_i32 s1, s1, 0xffff6b90
	s_add_i32 s1, s6, s1
	s_mul_i32 s0, s0, 0xffff6b90
	s_waitcnt vmcnt(0)
	v_lshlrev_b64 v[2:3], 4, v[2:3]
	v_add_co_u32_e32 v2, vcc, s12, v2
	v_addc_co_u32_e32 v3, vcc, v8, v3, vcc
	v_add_co_u32_e32 v8, vcc, v2, v0
	v_addc_co_u32_e32 v9, vcc, v3, v1, vcc
	global_store_dwordx4 v[8:9], v[4:7], off
	ds_read_b128 v[0:3], v106 offset:20000
	buffer_load_dword v10, off, s[28:31], 0 offset:40 ; 4-byte Folded Reload
	buffer_load_dword v11, off, s[28:31], 0 offset:44 ; 4-byte Folded Reload
	buffer_load_dword v12, off, s[28:31], 0 offset:48 ; 4-byte Folded Reload
	buffer_load_dword v13, off, s[28:31], 0 offset:52 ; 4-byte Folded Reload
	v_add_co_u32_e32 v8, vcc, s5, v8
	s_waitcnt vmcnt(0) lgkmcnt(0)
	v_mul_f64 v[4:5], v[12:13], v[2:3]
	v_fma_f64 v[4:5], v[10:11], v[0:1], v[4:5]
	v_mul_f64 v[0:1], v[12:13], v[0:1]
	v_mul_f64 v[4:5], v[4:5], s[2:3]
	v_fma_f64 v[0:1], v[10:11], v[2:3], -v[0:1]
	v_mul_f64 v[6:7], v[0:1], s[2:3]
	v_mov_b32_e32 v0, s4
	v_addc_co_u32_e32 v9, vcc, v9, v0, vcc
	ds_read_b128 v[0:3], v106 offset:40000
	global_store_dwordx4 v[8:9], v[4:7], off
	buffer_load_dword v10, off, s[28:31], 0 offset:56 ; 4-byte Folded Reload
	buffer_load_dword v11, off, s[28:31], 0 offset:60 ; 4-byte Folded Reload
	buffer_load_dword v12, off, s[28:31], 0 offset:64 ; 4-byte Folded Reload
	buffer_load_dword v13, off, s[28:31], 0 offset:68 ; 4-byte Folded Reload
	v_add_co_u32_e32 v8, vcc, s5, v8
	s_waitcnt vmcnt(0) lgkmcnt(0)
	v_mul_f64 v[4:5], v[12:13], v[2:3]
	v_fma_f64 v[4:5], v[10:11], v[0:1], v[4:5]
	v_mul_f64 v[0:1], v[12:13], v[0:1]
	v_mul_f64 v[4:5], v[4:5], s[2:3]
	v_fma_f64 v[0:1], v[10:11], v[2:3], -v[0:1]
	v_mul_f64 v[6:7], v[0:1], s[2:3]
	v_mov_b32_e32 v0, s4
	v_addc_co_u32_e32 v9, vcc, v9, v0, vcc
	ds_read_b128 v[0:3], v106 offset:2000
	global_store_dwordx4 v[8:9], v[4:7], off
	;; [unrolled: 16-line block ×27, first 2 shown]
	buffer_load_dword v10, off, s[28:31], 0 offset:472 ; 4-byte Folded Reload
	buffer_load_dword v11, off, s[28:31], 0 offset:476 ; 4-byte Folded Reload
	;; [unrolled: 1-line block ×4, first 2 shown]
	s_waitcnt vmcnt(0) lgkmcnt(0)
	v_mul_f64 v[4:5], v[12:13], v[2:3]
	v_fma_f64 v[4:5], v[10:11], v[0:1], v[4:5]
	v_mul_f64 v[0:1], v[12:13], v[0:1]
	v_mul_f64 v[4:5], v[4:5], s[2:3]
	v_fma_f64 v[0:1], v[10:11], v[2:3], -v[0:1]
	v_mul_f64 v[6:7], v[0:1], s[2:3]
	v_add_co_u32_e32 v0, vcc, s5, v8
	v_mov_b32_e32 v1, s4
	v_addc_co_u32_e32 v1, vcc, v9, v1, vcc
	global_store_dwordx4 v[0:1], v[4:7], off
	ds_read_b128 v[2:5], v106 offset:58000
	buffer_load_dword v8, off, s[28:31], 0 offset:8 ; 4-byte Folded Reload
	buffer_load_dword v9, off, s[28:31], 0 offset:12 ; 4-byte Folded Reload
	;; [unrolled: 1-line block ×4, first 2 shown]
	v_add_co_u32_e32 v0, vcc, s5, v0
	s_waitcnt vmcnt(0) lgkmcnt(0)
	v_mul_f64 v[6:7], v[10:11], v[4:5]
	v_fma_f64 v[6:7], v[8:9], v[2:3], v[6:7]
	v_mul_f64 v[2:3], v[10:11], v[2:3]
	v_mul_f64 v[6:7], v[6:7], s[2:3]
	v_fma_f64 v[2:3], v[8:9], v[4:5], -v[2:3]
	v_mul_f64 v[8:9], v[2:3], s[2:3]
	v_mov_b32_e32 v2, s4
	v_addc_co_u32_e32 v1, vcc, v1, v2, vcc
	global_store_dwordx4 v[0:1], v[6:9], off
.LBB0_2:
	s_endpgm
	.section	.rodata,"a",@progbits
	.p2align	6, 0x0
	.amdhsa_kernel bluestein_single_back_len3750_dim1_dp_op_CI_CI
		.amdhsa_group_segment_fixed_size 60000
		.amdhsa_private_segment_fixed_size 1796
		.amdhsa_kernarg_size 104
		.amdhsa_user_sgpr_count 6
		.amdhsa_user_sgpr_private_segment_buffer 1
		.amdhsa_user_sgpr_dispatch_ptr 0
		.amdhsa_user_sgpr_queue_ptr 0
		.amdhsa_user_sgpr_kernarg_segment_ptr 1
		.amdhsa_user_sgpr_dispatch_id 0
		.amdhsa_user_sgpr_flat_scratch_init 0
		.amdhsa_user_sgpr_private_segment_size 0
		.amdhsa_uses_dynamic_stack 0
		.amdhsa_system_sgpr_private_segment_wavefront_offset 1
		.amdhsa_system_sgpr_workgroup_id_x 1
		.amdhsa_system_sgpr_workgroup_id_y 0
		.amdhsa_system_sgpr_workgroup_id_z 0
		.amdhsa_system_sgpr_workgroup_info 0
		.amdhsa_system_vgpr_workitem_id 0
		.amdhsa_next_free_vgpr 256
		.amdhsa_next_free_sgpr 32
		.amdhsa_reserve_vcc 1
		.amdhsa_reserve_flat_scratch 0
		.amdhsa_float_round_mode_32 0
		.amdhsa_float_round_mode_16_64 0
		.amdhsa_float_denorm_mode_32 3
		.amdhsa_float_denorm_mode_16_64 3
		.amdhsa_dx10_clamp 1
		.amdhsa_ieee_mode 1
		.amdhsa_fp16_overflow 0
		.amdhsa_exception_fp_ieee_invalid_op 0
		.amdhsa_exception_fp_denorm_src 0
		.amdhsa_exception_fp_ieee_div_zero 0
		.amdhsa_exception_fp_ieee_overflow 0
		.amdhsa_exception_fp_ieee_underflow 0
		.amdhsa_exception_fp_ieee_inexact 0
		.amdhsa_exception_int_div_zero 0
	.end_amdhsa_kernel
	.text
.Lfunc_end0:
	.size	bluestein_single_back_len3750_dim1_dp_op_CI_CI, .Lfunc_end0-bluestein_single_back_len3750_dim1_dp_op_CI_CI
                                        ; -- End function
	.section	.AMDGPU.csdata,"",@progbits
; Kernel info:
; codeLenInByte = 54484
; NumSgprs: 36
; NumVgprs: 256
; ScratchSize: 1796
; MemoryBound: 0
; FloatMode: 240
; IeeeMode: 1
; LDSByteSize: 60000 bytes/workgroup (compile time only)
; SGPRBlocks: 4
; VGPRBlocks: 63
; NumSGPRsForWavesPerEU: 36
; NumVGPRsForWavesPerEU: 256
; Occupancy: 1
; WaveLimiterHint : 1
; COMPUTE_PGM_RSRC2:SCRATCH_EN: 1
; COMPUTE_PGM_RSRC2:USER_SGPR: 6
; COMPUTE_PGM_RSRC2:TRAP_HANDLER: 0
; COMPUTE_PGM_RSRC2:TGID_X_EN: 1
; COMPUTE_PGM_RSRC2:TGID_Y_EN: 0
; COMPUTE_PGM_RSRC2:TGID_Z_EN: 0
; COMPUTE_PGM_RSRC2:TIDIG_COMP_CNT: 0
	.type	__hip_cuid_fda136aa7d49459f,@object ; @__hip_cuid_fda136aa7d49459f
	.section	.bss,"aw",@nobits
	.globl	__hip_cuid_fda136aa7d49459f
__hip_cuid_fda136aa7d49459f:
	.byte	0                               ; 0x0
	.size	__hip_cuid_fda136aa7d49459f, 1

	.ident	"AMD clang version 19.0.0git (https://github.com/RadeonOpenCompute/llvm-project roc-6.4.0 25133 c7fe45cf4b819c5991fe208aaa96edf142730f1d)"
	.section	".note.GNU-stack","",@progbits
	.addrsig
	.addrsig_sym __hip_cuid_fda136aa7d49459f
	.amdgpu_metadata
---
amdhsa.kernels:
  - .args:
      - .actual_access:  read_only
        .address_space:  global
        .offset:         0
        .size:           8
        .value_kind:     global_buffer
      - .actual_access:  read_only
        .address_space:  global
        .offset:         8
        .size:           8
        .value_kind:     global_buffer
      - .actual_access:  read_only
        .address_space:  global
        .offset:         16
        .size:           8
        .value_kind:     global_buffer
      - .actual_access:  read_only
        .address_space:  global
        .offset:         24
        .size:           8
        .value_kind:     global_buffer
      - .actual_access:  read_only
        .address_space:  global
        .offset:         32
        .size:           8
        .value_kind:     global_buffer
      - .offset:         40
        .size:           8
        .value_kind:     by_value
      - .address_space:  global
        .offset:         48
        .size:           8
        .value_kind:     global_buffer
      - .address_space:  global
        .offset:         56
        .size:           8
        .value_kind:     global_buffer
      - .address_space:  global
        .offset:         64
        .size:           8
        .value_kind:     global_buffer
      - .address_space:  global
        .offset:         72
        .size:           8
        .value_kind:     global_buffer
      - .offset:         80
        .size:           4
        .value_kind:     by_value
      - .address_space:  global
        .offset:         88
        .size:           8
        .value_kind:     global_buffer
      - .address_space:  global
        .offset:         96
        .size:           8
        .value_kind:     global_buffer
    .group_segment_fixed_size: 60000
    .kernarg_segment_align: 8
    .kernarg_segment_size: 104
    .language:       OpenCL C
    .language_version:
      - 2
      - 0
    .max_flat_workgroup_size: 125
    .name:           bluestein_single_back_len3750_dim1_dp_op_CI_CI
    .private_segment_fixed_size: 1796
    .sgpr_count:     36
    .sgpr_spill_count: 0
    .symbol:         bluestein_single_back_len3750_dim1_dp_op_CI_CI.kd
    .uniform_work_group_size: 1
    .uses_dynamic_stack: false
    .vgpr_count:     256
    .vgpr_spill_count: 448
    .wavefront_size: 64
amdhsa.target:   amdgcn-amd-amdhsa--gfx906
amdhsa.version:
  - 1
  - 2
...

	.end_amdgpu_metadata
